;; amdgpu-corpus repo=ParRes/Kernels kind=compiled arch=gfx1100 opt=O3
	.text
	.amdgcn_target "amdgcn-amd-amdhsa--gfx1100"
	.amdhsa_code_object_version 6
	.section	.text._ZN6thrust11hip_rocprim14__parallel_for6kernelILj256ENS0_20__uninitialized_fill7functorINS_10device_ptrIdEEdEEmLj1EEEvT0_T1_S9_,"axG",@progbits,_ZN6thrust11hip_rocprim14__parallel_for6kernelILj256ENS0_20__uninitialized_fill7functorINS_10device_ptrIdEEdEEmLj1EEEvT0_T1_S9_,comdat
	.protected	_ZN6thrust11hip_rocprim14__parallel_for6kernelILj256ENS0_20__uninitialized_fill7functorINS_10device_ptrIdEEdEEmLj1EEEvT0_T1_S9_ ; -- Begin function _ZN6thrust11hip_rocprim14__parallel_for6kernelILj256ENS0_20__uninitialized_fill7functorINS_10device_ptrIdEEdEEmLj1EEEvT0_T1_S9_
	.globl	_ZN6thrust11hip_rocprim14__parallel_for6kernelILj256ENS0_20__uninitialized_fill7functorINS_10device_ptrIdEEdEEmLj1EEEvT0_T1_S9_
	.p2align	8
	.type	_ZN6thrust11hip_rocprim14__parallel_for6kernelILj256ENS0_20__uninitialized_fill7functorINS_10device_ptrIdEEdEEmLj1EEEvT0_T1_S9_,@function
_ZN6thrust11hip_rocprim14__parallel_for6kernelILj256ENS0_20__uninitialized_fill7functorINS_10device_ptrIdEEdEEmLj1EEEvT0_T1_S9_: ; @_ZN6thrust11hip_rocprim14__parallel_for6kernelILj256ENS0_20__uninitialized_fill7functorINS_10device_ptrIdEEdEEmLj1EEEvT0_T1_S9_
; %bb.0:
	s_load_b256 s[0:7], s[0:1], 0x0
	s_lshl_b32 s8, s15, 8
	s_waitcnt lgkmcnt(0)
	s_add_u32 s6, s8, s6
	s_addc_u32 s7, 0, s7
	s_sub_u32 s4, s4, s6
	s_subb_u32 s5, s5, s7
	s_delay_alu instid0(SALU_CYCLE_1) | instskip(NEXT) | instid1(VALU_DEP_1)
	v_cmp_gt_u64_e64 s5, 0x100, s[4:5]
	s_and_b32 vcc_lo, exec_lo, s5
	s_mov_b32 s5, 0
	s_cbranch_vccz .LBB0_2
; %bb.1:
	v_cmp_gt_u32_e32 vcc_lo, s4, v0
	s_and_b32 s5, vcc_lo, exec_lo
	s_cbranch_execz .LBB0_3
	s_branch .LBB0_4
.LBB0_2:
.LBB0_3:
	s_or_b32 s5, s5, exec_lo
.LBB0_4:
	s_delay_alu instid0(SALU_CYCLE_1)
	s_and_saveexec_b32 s4, s5
	s_cbranch_execnz .LBB0_6
; %bb.5:
	s_endpgm
.LBB0_6:
	v_dual_mov_b32 v1, 0 :: v_dual_mov_b32 v2, s2
	s_lshl_b64 s[4:5], s[6:7], 3
	v_mov_b32_e32 v3, s3
	s_add_u32 s0, s0, s4
	s_delay_alu instid0(VALU_DEP_2) | instskip(SKIP_1) | instid1(VALU_DEP_1)
	v_lshlrev_b64 v[0:1], 3, v[0:1]
	s_addc_u32 s1, s1, s5
	v_add_co_u32 v0, vcc_lo, s0, v0
	s_delay_alu instid0(VALU_DEP_2)
	v_add_co_ci_u32_e32 v1, vcc_lo, s1, v1, vcc_lo
	flat_store_b64 v[0:1], v[2:3]
	s_endpgm
	.section	.rodata,"a",@progbits
	.p2align	6, 0x0
	.amdhsa_kernel _ZN6thrust11hip_rocprim14__parallel_for6kernelILj256ENS0_20__uninitialized_fill7functorINS_10device_ptrIdEEdEEmLj1EEEvT0_T1_S9_
		.amdhsa_group_segment_fixed_size 0
		.amdhsa_private_segment_fixed_size 0
		.amdhsa_kernarg_size 32
		.amdhsa_user_sgpr_count 15
		.amdhsa_user_sgpr_dispatch_ptr 0
		.amdhsa_user_sgpr_queue_ptr 0
		.amdhsa_user_sgpr_kernarg_segment_ptr 1
		.amdhsa_user_sgpr_dispatch_id 0
		.amdhsa_user_sgpr_private_segment_size 0
		.amdhsa_wavefront_size32 1
		.amdhsa_uses_dynamic_stack 0
		.amdhsa_enable_private_segment 0
		.amdhsa_system_sgpr_workgroup_id_x 1
		.amdhsa_system_sgpr_workgroup_id_y 0
		.amdhsa_system_sgpr_workgroup_id_z 0
		.amdhsa_system_sgpr_workgroup_info 0
		.amdhsa_system_vgpr_workitem_id 0
		.amdhsa_next_free_vgpr 4
		.amdhsa_next_free_sgpr 16
		.amdhsa_reserve_vcc 1
		.amdhsa_float_round_mode_32 0
		.amdhsa_float_round_mode_16_64 0
		.amdhsa_float_denorm_mode_32 3
		.amdhsa_float_denorm_mode_16_64 3
		.amdhsa_dx10_clamp 1
		.amdhsa_ieee_mode 1
		.amdhsa_fp16_overflow 0
		.amdhsa_workgroup_processor_mode 1
		.amdhsa_memory_ordered 1
		.amdhsa_forward_progress 0
		.amdhsa_shared_vgpr_count 0
		.amdhsa_exception_fp_ieee_invalid_op 0
		.amdhsa_exception_fp_denorm_src 0
		.amdhsa_exception_fp_ieee_div_zero 0
		.amdhsa_exception_fp_ieee_overflow 0
		.amdhsa_exception_fp_ieee_underflow 0
		.amdhsa_exception_fp_ieee_inexact 0
		.amdhsa_exception_int_div_zero 0
	.end_amdhsa_kernel
	.section	.text._ZN6thrust11hip_rocprim14__parallel_for6kernelILj256ENS0_20__uninitialized_fill7functorINS_10device_ptrIdEEdEEmLj1EEEvT0_T1_S9_,"axG",@progbits,_ZN6thrust11hip_rocprim14__parallel_for6kernelILj256ENS0_20__uninitialized_fill7functorINS_10device_ptrIdEEdEEmLj1EEEvT0_T1_S9_,comdat
.Lfunc_end0:
	.size	_ZN6thrust11hip_rocprim14__parallel_for6kernelILj256ENS0_20__uninitialized_fill7functorINS_10device_ptrIdEEdEEmLj1EEEvT0_T1_S9_, .Lfunc_end0-_ZN6thrust11hip_rocprim14__parallel_for6kernelILj256ENS0_20__uninitialized_fill7functorINS_10device_ptrIdEEdEEmLj1EEEvT0_T1_S9_
                                        ; -- End function
	.section	.AMDGPU.csdata,"",@progbits
; Kernel info:
; codeLenInByte = 160
; NumSgprs: 18
; NumVgprs: 4
; ScratchSize: 0
; MemoryBound: 0
; FloatMode: 240
; IeeeMode: 1
; LDSByteSize: 0 bytes/workgroup (compile time only)
; SGPRBlocks: 2
; VGPRBlocks: 0
; NumSGPRsForWavesPerEU: 18
; NumVGPRsForWavesPerEU: 4
; Occupancy: 16
; WaveLimiterHint : 0
; COMPUTE_PGM_RSRC2:SCRATCH_EN: 0
; COMPUTE_PGM_RSRC2:USER_SGPR: 15
; COMPUTE_PGM_RSRC2:TRAP_HANDLER: 0
; COMPUTE_PGM_RSRC2:TGID_X_EN: 1
; COMPUTE_PGM_RSRC2:TGID_Y_EN: 0
; COMPUTE_PGM_RSRC2:TGID_Z_EN: 0
; COMPUTE_PGM_RSRC2:TIDIG_COMP_CNT: 0
	.section	.text._ZN6thrust11hip_rocprim14__parallel_for6kernelILj256ENS0_11__transform17unary_transform_fINS_17counting_iteratorIlNS_11use_defaultES6_S6_EENS_6detail15normal_iteratorINS_10device_ptrIdEEEENS3_14no_stencil_tagEZNS0_6fill_nINS0_5par_tESC_ldEET0_RNS0_16execution_policyIT_EESG_T1_RKT2_EUllE_NS3_21always_true_predicateEEElLj1EEEvSG_SL_SL_,"axG",@progbits,_ZN6thrust11hip_rocprim14__parallel_for6kernelILj256ENS0_11__transform17unary_transform_fINS_17counting_iteratorIlNS_11use_defaultES6_S6_EENS_6detail15normal_iteratorINS_10device_ptrIdEEEENS3_14no_stencil_tagEZNS0_6fill_nINS0_5par_tESC_ldEET0_RNS0_16execution_policyIT_EESG_T1_RKT2_EUllE_NS3_21always_true_predicateEEElLj1EEEvSG_SL_SL_,comdat
	.protected	_ZN6thrust11hip_rocprim14__parallel_for6kernelILj256ENS0_11__transform17unary_transform_fINS_17counting_iteratorIlNS_11use_defaultES6_S6_EENS_6detail15normal_iteratorINS_10device_ptrIdEEEENS3_14no_stencil_tagEZNS0_6fill_nINS0_5par_tESC_ldEET0_RNS0_16execution_policyIT_EESG_T1_RKT2_EUllE_NS3_21always_true_predicateEEElLj1EEEvSG_SL_SL_ ; -- Begin function _ZN6thrust11hip_rocprim14__parallel_for6kernelILj256ENS0_11__transform17unary_transform_fINS_17counting_iteratorIlNS_11use_defaultES6_S6_EENS_6detail15normal_iteratorINS_10device_ptrIdEEEENS3_14no_stencil_tagEZNS0_6fill_nINS0_5par_tESC_ldEET0_RNS0_16execution_policyIT_EESG_T1_RKT2_EUllE_NS3_21always_true_predicateEEElLj1EEEvSG_SL_SL_
	.globl	_ZN6thrust11hip_rocprim14__parallel_for6kernelILj256ENS0_11__transform17unary_transform_fINS_17counting_iteratorIlNS_11use_defaultES6_S6_EENS_6detail15normal_iteratorINS_10device_ptrIdEEEENS3_14no_stencil_tagEZNS0_6fill_nINS0_5par_tESC_ldEET0_RNS0_16execution_policyIT_EESG_T1_RKT2_EUllE_NS3_21always_true_predicateEEElLj1EEEvSG_SL_SL_
	.p2align	8
	.type	_ZN6thrust11hip_rocprim14__parallel_for6kernelILj256ENS0_11__transform17unary_transform_fINS_17counting_iteratorIlNS_11use_defaultES6_S6_EENS_6detail15normal_iteratorINS_10device_ptrIdEEEENS3_14no_stencil_tagEZNS0_6fill_nINS0_5par_tESC_ldEET0_RNS0_16execution_policyIT_EESG_T1_RKT2_EUllE_NS3_21always_true_predicateEEElLj1EEEvSG_SL_SL_,@function
_ZN6thrust11hip_rocprim14__parallel_for6kernelILj256ENS0_11__transform17unary_transform_fINS_17counting_iteratorIlNS_11use_defaultES6_S6_EENS_6detail15normal_iteratorINS_10device_ptrIdEEEENS3_14no_stencil_tagEZNS0_6fill_nINS0_5par_tESC_ldEET0_RNS0_16execution_policyIT_EESG_T1_RKT2_EUllE_NS3_21always_true_predicateEEElLj1EEEvSG_SL_SL_: ; @_ZN6thrust11hip_rocprim14__parallel_for6kernelILj256ENS0_11__transform17unary_transform_fINS_17counting_iteratorIlNS_11use_defaultES6_S6_EENS_6detail15normal_iteratorINS_10device_ptrIdEEEENS3_14no_stencil_tagEZNS0_6fill_nINS0_5par_tESC_ldEET0_RNS0_16execution_policyIT_EESG_T1_RKT2_EUllE_NS3_21always_true_predicateEEElLj1EEEvSG_SL_SL_
; %bb.0:
	s_load_b128 s[4:7], s[0:1], 0x20
	s_lshl_b32 s2, s15, 8
	s_waitcnt lgkmcnt(0)
	s_add_u32 s2, s2, s6
	s_addc_u32 s3, 0, s7
	s_sub_u32 s4, s4, s2
	s_subb_u32 s5, s5, s3
	s_delay_alu instid0(SALU_CYCLE_1) | instskip(NEXT) | instid1(VALU_DEP_1)
	v_cmp_gt_i64_e64 s5, 0x100, s[4:5]
	s_and_b32 s5, s5, exec_lo
	s_cselect_b32 s4, s4, 0x100
	s_delay_alu instid0(SALU_CYCLE_1) | instskip(SKIP_2) | instid1(SALU_CYCLE_1)
	v_cmp_gt_u32_e32 vcc_lo, s4, v0
	s_cmpk_eq_i32 s4, 0x100
	s_cselect_b32 s4, -1, 0
	s_or_b32 s4, s4, vcc_lo
	s_delay_alu instid0(SALU_CYCLE_1)
	s_and_saveexec_b32 s5, s4
	s_cbranch_execz .LBB1_2
; %bb.1:
	s_load_b128 s[4:7], s[0:1], 0x8
	v_lshlrev_b32_e32 v2, 3, v0
	s_lshl_b64 s[0:1], s[2:3], 3
	s_waitcnt lgkmcnt(0)
	v_mov_b32_e32 v1, s7
	s_add_u32 s0, s4, s0
	s_addc_u32 s1, s5, s1
	v_add_co_u32 v2, s0, s0, v2
	v_mov_b32_e32 v0, s6
	v_add_co_ci_u32_e64 v3, null, s1, 0, s0
	flat_store_b64 v[2:3], v[0:1]
.LBB1_2:
	s_endpgm
	.section	.rodata,"a",@progbits
	.p2align	6, 0x0
	.amdhsa_kernel _ZN6thrust11hip_rocprim14__parallel_for6kernelILj256ENS0_11__transform17unary_transform_fINS_17counting_iteratorIlNS_11use_defaultES6_S6_EENS_6detail15normal_iteratorINS_10device_ptrIdEEEENS3_14no_stencil_tagEZNS0_6fill_nINS0_5par_tESC_ldEET0_RNS0_16execution_policyIT_EESG_T1_RKT2_EUllE_NS3_21always_true_predicateEEElLj1EEEvSG_SL_SL_
		.amdhsa_group_segment_fixed_size 0
		.amdhsa_private_segment_fixed_size 0
		.amdhsa_kernarg_size 48
		.amdhsa_user_sgpr_count 15
		.amdhsa_user_sgpr_dispatch_ptr 0
		.amdhsa_user_sgpr_queue_ptr 0
		.amdhsa_user_sgpr_kernarg_segment_ptr 1
		.amdhsa_user_sgpr_dispatch_id 0
		.amdhsa_user_sgpr_private_segment_size 0
		.amdhsa_wavefront_size32 1
		.amdhsa_uses_dynamic_stack 0
		.amdhsa_enable_private_segment 0
		.amdhsa_system_sgpr_workgroup_id_x 1
		.amdhsa_system_sgpr_workgroup_id_y 0
		.amdhsa_system_sgpr_workgroup_id_z 0
		.amdhsa_system_sgpr_workgroup_info 0
		.amdhsa_system_vgpr_workitem_id 0
		.amdhsa_next_free_vgpr 4
		.amdhsa_next_free_sgpr 16
		.amdhsa_reserve_vcc 1
		.amdhsa_float_round_mode_32 0
		.amdhsa_float_round_mode_16_64 0
		.amdhsa_float_denorm_mode_32 3
		.amdhsa_float_denorm_mode_16_64 3
		.amdhsa_dx10_clamp 1
		.amdhsa_ieee_mode 1
		.amdhsa_fp16_overflow 0
		.amdhsa_workgroup_processor_mode 1
		.amdhsa_memory_ordered 1
		.amdhsa_forward_progress 0
		.amdhsa_shared_vgpr_count 0
		.amdhsa_exception_fp_ieee_invalid_op 0
		.amdhsa_exception_fp_denorm_src 0
		.amdhsa_exception_fp_ieee_div_zero 0
		.amdhsa_exception_fp_ieee_overflow 0
		.amdhsa_exception_fp_ieee_underflow 0
		.amdhsa_exception_fp_ieee_inexact 0
		.amdhsa_exception_int_div_zero 0
	.end_amdhsa_kernel
	.section	.text._ZN6thrust11hip_rocprim14__parallel_for6kernelILj256ENS0_11__transform17unary_transform_fINS_17counting_iteratorIlNS_11use_defaultES6_S6_EENS_6detail15normal_iteratorINS_10device_ptrIdEEEENS3_14no_stencil_tagEZNS0_6fill_nINS0_5par_tESC_ldEET0_RNS0_16execution_policyIT_EESG_T1_RKT2_EUllE_NS3_21always_true_predicateEEElLj1EEEvSG_SL_SL_,"axG",@progbits,_ZN6thrust11hip_rocprim14__parallel_for6kernelILj256ENS0_11__transform17unary_transform_fINS_17counting_iteratorIlNS_11use_defaultES6_S6_EENS_6detail15normal_iteratorINS_10device_ptrIdEEEENS3_14no_stencil_tagEZNS0_6fill_nINS0_5par_tESC_ldEET0_RNS0_16execution_policyIT_EESG_T1_RKT2_EUllE_NS3_21always_true_predicateEEElLj1EEEvSG_SL_SL_,comdat
.Lfunc_end1:
	.size	_ZN6thrust11hip_rocprim14__parallel_for6kernelILj256ENS0_11__transform17unary_transform_fINS_17counting_iteratorIlNS_11use_defaultES6_S6_EENS_6detail15normal_iteratorINS_10device_ptrIdEEEENS3_14no_stencil_tagEZNS0_6fill_nINS0_5par_tESC_ldEET0_RNS0_16execution_policyIT_EESG_T1_RKT2_EUllE_NS3_21always_true_predicateEEElLj1EEEvSG_SL_SL_, .Lfunc_end1-_ZN6thrust11hip_rocprim14__parallel_for6kernelILj256ENS0_11__transform17unary_transform_fINS_17counting_iteratorIlNS_11use_defaultES6_S6_EENS_6detail15normal_iteratorINS_10device_ptrIdEEEENS3_14no_stencil_tagEZNS0_6fill_nINS0_5par_tESC_ldEET0_RNS0_16execution_policyIT_EESG_T1_RKT2_EUllE_NS3_21always_true_predicateEEElLj1EEEvSG_SL_SL_
                                        ; -- End function
	.section	.AMDGPU.csdata,"",@progbits
; Kernel info:
; codeLenInByte = 156
; NumSgprs: 18
; NumVgprs: 4
; ScratchSize: 0
; MemoryBound: 0
; FloatMode: 240
; IeeeMode: 1
; LDSByteSize: 0 bytes/workgroup (compile time only)
; SGPRBlocks: 2
; VGPRBlocks: 0
; NumSGPRsForWavesPerEU: 18
; NumVGPRsForWavesPerEU: 4
; Occupancy: 16
; WaveLimiterHint : 0
; COMPUTE_PGM_RSRC2:SCRATCH_EN: 0
; COMPUTE_PGM_RSRC2:USER_SGPR: 15
; COMPUTE_PGM_RSRC2:TRAP_HANDLER: 0
; COMPUTE_PGM_RSRC2:TGID_X_EN: 1
; COMPUTE_PGM_RSRC2:TGID_Y_EN: 0
; COMPUTE_PGM_RSRC2:TGID_Z_EN: 0
; COMPUTE_PGM_RSRC2:TIDIG_COMP_CNT: 0
	.section	.text._ZN6thrust11hip_rocprim14__parallel_for6kernelILj256ENS0_10for_each_fINS_12zip_iteratorINS_5tupleINS_6detail15normal_iteratorINS_10device_ptrIdEEEESA_SA_NS_9null_typeESB_SB_SB_SB_SB_SB_EEEENS6_16wrapped_functionIZ4mainEUlNS5_IRdddSB_SB_SB_SB_SB_SB_SB_EEE_vEEEElLj1EEEvT0_T1_SL_,"axG",@progbits,_ZN6thrust11hip_rocprim14__parallel_for6kernelILj256ENS0_10for_each_fINS_12zip_iteratorINS_5tupleINS_6detail15normal_iteratorINS_10device_ptrIdEEEESA_SA_NS_9null_typeESB_SB_SB_SB_SB_SB_EEEENS6_16wrapped_functionIZ4mainEUlNS5_IRdddSB_SB_SB_SB_SB_SB_SB_EEE_vEEEElLj1EEEvT0_T1_SL_,comdat
	.globl	_ZN6thrust11hip_rocprim14__parallel_for6kernelILj256ENS0_10for_each_fINS_12zip_iteratorINS_5tupleINS_6detail15normal_iteratorINS_10device_ptrIdEEEESA_SA_NS_9null_typeESB_SB_SB_SB_SB_SB_EEEENS6_16wrapped_functionIZ4mainEUlNS5_IRdddSB_SB_SB_SB_SB_SB_SB_EEE_vEEEElLj1EEEvT0_T1_SL_ ; -- Begin function _ZN6thrust11hip_rocprim14__parallel_for6kernelILj256ENS0_10for_each_fINS_12zip_iteratorINS_5tupleINS_6detail15normal_iteratorINS_10device_ptrIdEEEESA_SA_NS_9null_typeESB_SB_SB_SB_SB_SB_EEEENS6_16wrapped_functionIZ4mainEUlNS5_IRdddSB_SB_SB_SB_SB_SB_SB_EEE_vEEEElLj1EEEvT0_T1_SL_
	.p2align	8
	.type	_ZN6thrust11hip_rocprim14__parallel_for6kernelILj256ENS0_10for_each_fINS_12zip_iteratorINS_5tupleINS_6detail15normal_iteratorINS_10device_ptrIdEEEESA_SA_NS_9null_typeESB_SB_SB_SB_SB_SB_EEEENS6_16wrapped_functionIZ4mainEUlNS5_IRdddSB_SB_SB_SB_SB_SB_SB_EEE_vEEEElLj1EEEvT0_T1_SL_,@function
_ZN6thrust11hip_rocprim14__parallel_for6kernelILj256ENS0_10for_each_fINS_12zip_iteratorINS_5tupleINS_6detail15normal_iteratorINS_10device_ptrIdEEEESA_SA_NS_9null_typeESB_SB_SB_SB_SB_SB_EEEENS6_16wrapped_functionIZ4mainEUlNS5_IRdddSB_SB_SB_SB_SB_SB_SB_EEE_vEEEElLj1EEEvT0_T1_SL_: ; @_ZN6thrust11hip_rocprim14__parallel_for6kernelILj256ENS0_10for_each_fINS_12zip_iteratorINS_5tupleINS_6detail15normal_iteratorINS_10device_ptrIdEEEESA_SA_NS_9null_typeESB_SB_SB_SB_SB_SB_EEEENS6_16wrapped_functionIZ4mainEUlNS5_IRdddSB_SB_SB_SB_SB_SB_SB_EEE_vEEEElLj1EEEvT0_T1_SL_
; %bb.0:
	s_load_b128 s[4:7], s[0:1], 0x20
	s_lshl_b32 s2, s15, 8
	s_waitcnt lgkmcnt(0)
	s_add_u32 s2, s2, s6
	s_addc_u32 s3, 0, s7
	s_sub_u32 s4, s4, s2
	s_subb_u32 s5, s5, s3
	s_delay_alu instid0(SALU_CYCLE_1) | instskip(NEXT) | instid1(VALU_DEP_1)
	v_cmp_gt_i64_e64 s5, 0x100, s[4:5]
	s_and_b32 s5, s5, exec_lo
	s_cselect_b32 s4, s4, 0x100
	s_delay_alu instid0(SALU_CYCLE_1) | instskip(SKIP_2) | instid1(SALU_CYCLE_1)
	v_cmp_gt_u32_e32 vcc_lo, s4, v0
	s_cmpk_eq_i32 s4, 0x100
	s_cselect_b32 s4, -1, 0
	s_or_b32 s4, s4, vcc_lo
	s_delay_alu instid0(SALU_CYCLE_1)
	s_and_saveexec_b32 s5, s4
	s_cbranch_execz .LBB2_2
; %bb.1:
	s_load_b256 s[4:11], s[0:1], 0x0
	v_add_co_u32 v0, s0, s2, v0
	s_delay_alu instid0(VALU_DEP_1) | instskip(NEXT) | instid1(VALU_DEP_1)
	v_add_co_ci_u32_e64 v1, null, s3, 0, s0
	v_lshlrev_b64 v[0:1], 3, v[0:1]
	s_waitcnt lgkmcnt(0)
	s_delay_alu instid0(VALU_DEP_1) | instskip(NEXT) | instid1(VALU_DEP_2)
	v_add_co_u32 v2, vcc_lo, s6, v0
	v_add_co_ci_u32_e32 v3, vcc_lo, s7, v1, vcc_lo
	v_add_co_u32 v4, vcc_lo, s8, v0
	v_add_co_ci_u32_e32 v5, vcc_lo, s9, v1, vcc_lo
	v_add_co_u32 v0, vcc_lo, s4, v0
	global_load_b64 v[2:3], v[2:3], off
	global_load_b64 v[4:5], v[4:5], off
	v_add_co_ci_u32_e32 v1, vcc_lo, s5, v1, vcc_lo
	global_load_b64 v[6:7], v[0:1], off
	s_waitcnt vmcnt(1)
	v_fma_f64 v[2:3], s[10:11], v[4:5], v[2:3]
	s_waitcnt vmcnt(0)
	s_delay_alu instid0(VALU_DEP_1)
	v_add_f64 v[2:3], v[6:7], v[2:3]
	global_store_b64 v[0:1], v[2:3], off
.LBB2_2:
	s_nop 0
	s_sendmsg sendmsg(MSG_DEALLOC_VGPRS)
	s_endpgm
	.section	.rodata,"a",@progbits
	.p2align	6, 0x0
	.amdhsa_kernel _ZN6thrust11hip_rocprim14__parallel_for6kernelILj256ENS0_10for_each_fINS_12zip_iteratorINS_5tupleINS_6detail15normal_iteratorINS_10device_ptrIdEEEESA_SA_NS_9null_typeESB_SB_SB_SB_SB_SB_EEEENS6_16wrapped_functionIZ4mainEUlNS5_IRdddSB_SB_SB_SB_SB_SB_SB_EEE_vEEEElLj1EEEvT0_T1_SL_
		.amdhsa_group_segment_fixed_size 0
		.amdhsa_private_segment_fixed_size 0
		.amdhsa_kernarg_size 48
		.amdhsa_user_sgpr_count 15
		.amdhsa_user_sgpr_dispatch_ptr 0
		.amdhsa_user_sgpr_queue_ptr 0
		.amdhsa_user_sgpr_kernarg_segment_ptr 1
		.amdhsa_user_sgpr_dispatch_id 0
		.amdhsa_user_sgpr_private_segment_size 0
		.amdhsa_wavefront_size32 1
		.amdhsa_uses_dynamic_stack 0
		.amdhsa_enable_private_segment 0
		.amdhsa_system_sgpr_workgroup_id_x 1
		.amdhsa_system_sgpr_workgroup_id_y 0
		.amdhsa_system_sgpr_workgroup_id_z 0
		.amdhsa_system_sgpr_workgroup_info 0
		.amdhsa_system_vgpr_workitem_id 0
		.amdhsa_next_free_vgpr 8
		.amdhsa_next_free_sgpr 16
		.amdhsa_reserve_vcc 1
		.amdhsa_float_round_mode_32 0
		.amdhsa_float_round_mode_16_64 0
		.amdhsa_float_denorm_mode_32 3
		.amdhsa_float_denorm_mode_16_64 3
		.amdhsa_dx10_clamp 1
		.amdhsa_ieee_mode 1
		.amdhsa_fp16_overflow 0
		.amdhsa_workgroup_processor_mode 1
		.amdhsa_memory_ordered 1
		.amdhsa_forward_progress 0
		.amdhsa_shared_vgpr_count 0
		.amdhsa_exception_fp_ieee_invalid_op 0
		.amdhsa_exception_fp_denorm_src 0
		.amdhsa_exception_fp_ieee_div_zero 0
		.amdhsa_exception_fp_ieee_overflow 0
		.amdhsa_exception_fp_ieee_underflow 0
		.amdhsa_exception_fp_ieee_inexact 0
		.amdhsa_exception_int_div_zero 0
	.end_amdhsa_kernel
	.section	.text._ZN6thrust11hip_rocprim14__parallel_for6kernelILj256ENS0_10for_each_fINS_12zip_iteratorINS_5tupleINS_6detail15normal_iteratorINS_10device_ptrIdEEEESA_SA_NS_9null_typeESB_SB_SB_SB_SB_SB_EEEENS6_16wrapped_functionIZ4mainEUlNS5_IRdddSB_SB_SB_SB_SB_SB_SB_EEE_vEEEElLj1EEEvT0_T1_SL_,"axG",@progbits,_ZN6thrust11hip_rocprim14__parallel_for6kernelILj256ENS0_10for_each_fINS_12zip_iteratorINS_5tupleINS_6detail15normal_iteratorINS_10device_ptrIdEEEESA_SA_NS_9null_typeESB_SB_SB_SB_SB_SB_EEEENS6_16wrapped_functionIZ4mainEUlNS5_IRdddSB_SB_SB_SB_SB_SB_SB_EEE_vEEEElLj1EEEvT0_T1_SL_,comdat
.Lfunc_end2:
	.size	_ZN6thrust11hip_rocprim14__parallel_for6kernelILj256ENS0_10for_each_fINS_12zip_iteratorINS_5tupleINS_6detail15normal_iteratorINS_10device_ptrIdEEEESA_SA_NS_9null_typeESB_SB_SB_SB_SB_SB_EEEENS6_16wrapped_functionIZ4mainEUlNS5_IRdddSB_SB_SB_SB_SB_SB_SB_EEE_vEEEElLj1EEEvT0_T1_SL_, .Lfunc_end2-_ZN6thrust11hip_rocprim14__parallel_for6kernelILj256ENS0_10for_each_fINS_12zip_iteratorINS_5tupleINS_6detail15normal_iteratorINS_10device_ptrIdEEEESA_SA_NS_9null_typeESB_SB_SB_SB_SB_SB_EEEENS6_16wrapped_functionIZ4mainEUlNS5_IRdddSB_SB_SB_SB_SB_SB_SB_EEE_vEEEElLj1EEEvT0_T1_SL_
                                        ; -- End function
	.section	.AMDGPU.csdata,"",@progbits
; Kernel info:
; codeLenInByte = 244
; NumSgprs: 18
; NumVgprs: 8
; ScratchSize: 0
; MemoryBound: 0
; FloatMode: 240
; IeeeMode: 1
; LDSByteSize: 0 bytes/workgroup (compile time only)
; SGPRBlocks: 2
; VGPRBlocks: 0
; NumSGPRsForWavesPerEU: 18
; NumVGPRsForWavesPerEU: 8
; Occupancy: 16
; WaveLimiterHint : 0
; COMPUTE_PGM_RSRC2:SCRATCH_EN: 0
; COMPUTE_PGM_RSRC2:USER_SGPR: 15
; COMPUTE_PGM_RSRC2:TRAP_HANDLER: 0
; COMPUTE_PGM_RSRC2:TGID_X_EN: 1
; COMPUTE_PGM_RSRC2:TGID_Y_EN: 0
; COMPUTE_PGM_RSRC2:TGID_Z_EN: 0
; COMPUTE_PGM_RSRC2:TIDIG_COMP_CNT: 0
	.section	.text._ZN7rocprim6detail19block_reduce_kernelILb0ELb1ELj1ENS0_21wrapped_reduce_configINS_14default_configEdEEdPdS5_dN6thrust4plusIdEEEEvT4_mT5_T6_T7_,"axG",@progbits,_ZN7rocprim6detail19block_reduce_kernelILb0ELb1ELj1ENS0_21wrapped_reduce_configINS_14default_configEdEEdPdS5_dN6thrust4plusIdEEEEvT4_mT5_T6_T7_,comdat
	.protected	_ZN7rocprim6detail19block_reduce_kernelILb0ELb1ELj1ENS0_21wrapped_reduce_configINS_14default_configEdEEdPdS5_dN6thrust4plusIdEEEEvT4_mT5_T6_T7_ ; -- Begin function _ZN7rocprim6detail19block_reduce_kernelILb0ELb1ELj1ENS0_21wrapped_reduce_configINS_14default_configEdEEdPdS5_dN6thrust4plusIdEEEEvT4_mT5_T6_T7_
	.globl	_ZN7rocprim6detail19block_reduce_kernelILb0ELb1ELj1ENS0_21wrapped_reduce_configINS_14default_configEdEEdPdS5_dN6thrust4plusIdEEEEvT4_mT5_T6_T7_
	.p2align	8
	.type	_ZN7rocprim6detail19block_reduce_kernelILb0ELb1ELj1ENS0_21wrapped_reduce_configINS_14default_configEdEEdPdS5_dN6thrust4plusIdEEEEvT4_mT5_T6_T7_,@function
_ZN7rocprim6detail19block_reduce_kernelILb0ELb1ELj1ENS0_21wrapped_reduce_configINS_14default_configEdEEdPdS5_dN6thrust4plusIdEEEEvT4_mT5_T6_T7_: ; @_ZN7rocprim6detail19block_reduce_kernelILb0ELb1ELj1ENS0_21wrapped_reduce_configINS_14default_configEdEEdPdS5_dN6thrust4plusIdEEEEvT4_mT5_T6_T7_
; %bb.0:
	s_load_b256 s[4:11], s[0:1], 0x0
	s_mov_b32 s1, 0
	s_lshl_b32 s0, s15, 10
	v_lshlrev_b32_e32 v1, 3, v0
	s_lshl_b64 s[2:3], s[0:1], 3
	s_mov_b32 s12, s15
	s_mov_b32 s13, s1
	v_mbcnt_lo_u32_b32 v11, -1, 0
	s_waitcnt lgkmcnt(0)
	s_lshr_b64 s[14:15], s[6:7], 10
	s_add_u32 s1, s4, s2
	s_addc_u32 s2, s5, s3
	v_add_co_u32 v9, s1, s1, v1
	s_delay_alu instid0(VALU_DEP_1)
	v_add_co_ci_u32_e64 v10, null, s2, 0, s1
	s_cmp_lg_u64 s[14:15], s[12:13]
	s_cbranch_scc0 .LBB3_6
; %bb.1:
	s_clause 0x1
	global_load_b64 v[1:2], v[9:10], off
	global_load_b64 v[3:4], v[9:10], off offset:2048
	v_add_co_u32 v5, vcc_lo, 0x1000, v9
	v_add_co_ci_u32_e32 v6, vcc_lo, 0, v10, vcc_lo
	s_mov_b32 s1, exec_lo
	s_clause 0x1
	global_load_b64 v[7:8], v[5:6], off
	global_load_b64 v[5:6], v[5:6], off offset:2048
	s_waitcnt vmcnt(2)
	v_add_f64 v[1:2], v[1:2], v[3:4]
	s_waitcnt vmcnt(1)
	s_delay_alu instid0(VALU_DEP_1) | instskip(SKIP_1) | instid1(VALU_DEP_1)
	v_add_f64 v[1:2], v[1:2], v[7:8]
	s_waitcnt vmcnt(0)
	v_add_f64 v[1:2], v[1:2], v[5:6]
	s_delay_alu instid0(VALU_DEP_1) | instskip(NEXT) | instid1(VALU_DEP_2)
	v_mov_b32_dpp v3, v1 quad_perm:[1,0,3,2] row_mask:0xf bank_mask:0xf
	v_mov_b32_dpp v4, v2 quad_perm:[1,0,3,2] row_mask:0xf bank_mask:0xf
	s_delay_alu instid0(VALU_DEP_1) | instskip(NEXT) | instid1(VALU_DEP_1)
	v_add_f64 v[1:2], v[1:2], v[3:4]
	v_mov_b32_dpp v3, v1 quad_perm:[2,3,0,1] row_mask:0xf bank_mask:0xf
	s_delay_alu instid0(VALU_DEP_2) | instskip(NEXT) | instid1(VALU_DEP_1)
	v_mov_b32_dpp v4, v2 quad_perm:[2,3,0,1] row_mask:0xf bank_mask:0xf
	v_add_f64 v[1:2], v[1:2], v[3:4]
	s_delay_alu instid0(VALU_DEP_1) | instskip(NEXT) | instid1(VALU_DEP_2)
	v_mov_b32_dpp v3, v1 row_ror:4 row_mask:0xf bank_mask:0xf
	v_mov_b32_dpp v4, v2 row_ror:4 row_mask:0xf bank_mask:0xf
	s_delay_alu instid0(VALU_DEP_1) | instskip(NEXT) | instid1(VALU_DEP_1)
	v_add_f64 v[1:2], v[1:2], v[3:4]
	v_mov_b32_dpp v3, v1 row_ror:8 row_mask:0xf bank_mask:0xf
	s_delay_alu instid0(VALU_DEP_2) | instskip(NEXT) | instid1(VALU_DEP_1)
	v_mov_b32_dpp v4, v2 row_ror:8 row_mask:0xf bank_mask:0xf
	v_add_f64 v[1:2], v[1:2], v[3:4]
	ds_swizzle_b32 v3, v1 offset:swizzle(BROADCAST,32,15)
	ds_swizzle_b32 v4, v2 offset:swizzle(BROADCAST,32,15)
	s_waitcnt lgkmcnt(0)
	v_add_f64 v[1:2], v[1:2], v[3:4]
	v_mov_b32_e32 v3, 0
	ds_bpermute_b32 v1, v3, v1 offset:124
	ds_bpermute_b32 v2, v3, v2 offset:124
	v_cmpx_eq_u32_e32 0, v11
	s_cbranch_execz .LBB3_3
; %bb.2:
	v_lshrrev_b32_e32 v3, 2, v0
	s_delay_alu instid0(VALU_DEP_1)
	v_and_b32_e32 v3, 56, v3
	s_waitcnt lgkmcnt(0)
	ds_store_b64 v3, v[1:2]
.LBB3_3:
	s_or_b32 exec_lo, exec_lo, s1
	s_delay_alu instid0(SALU_CYCLE_1)
	s_mov_b32 s1, exec_lo
	s_waitcnt lgkmcnt(0)
	s_barrier
	buffer_gl0_inv
	v_cmpx_gt_u32_e32 32, v0
	s_cbranch_execz .LBB3_5
; %bb.4:
	v_and_b32_e32 v5, 7, v11
	s_delay_alu instid0(VALU_DEP_1) | instskip(SKIP_4) | instid1(VALU_DEP_2)
	v_lshlrev_b32_e32 v1, 3, v5
	v_cmp_ne_u32_e32 vcc_lo, 7, v5
	ds_load_b64 v[1:2], v1
	v_add_co_ci_u32_e32 v3, vcc_lo, 0, v11, vcc_lo
	v_cmp_gt_u32_e32 vcc_lo, 6, v5
	v_lshlrev_b32_e32 v4, 2, v3
	s_waitcnt lgkmcnt(0)
	ds_bpermute_b32 v3, v4, v1
	ds_bpermute_b32 v4, v4, v2
	s_waitcnt lgkmcnt(0)
	v_add_f64 v[1:2], v[1:2], v[3:4]
	v_cndmask_b32_e64 v3, 0, 1, vcc_lo
	v_cmp_gt_u32_e32 vcc_lo, 4, v5
	s_delay_alu instid0(VALU_DEP_2) | instskip(NEXT) | instid1(VALU_DEP_1)
	v_lshlrev_b32_e32 v3, 1, v3
	v_add_lshl_u32 v4, v3, v11, 2
	ds_bpermute_b32 v3, v4, v1
	ds_bpermute_b32 v4, v4, v2
	s_waitcnt lgkmcnt(0)
	v_add_f64 v[1:2], v[1:2], v[3:4]
	v_cndmask_b32_e64 v3, 0, 1, vcc_lo
	s_delay_alu instid0(VALU_DEP_1) | instskip(NEXT) | instid1(VALU_DEP_1)
	v_lshlrev_b32_e32 v3, 2, v3
	v_add_lshl_u32 v4, v3, v11, 2
	ds_bpermute_b32 v3, v4, v1
	ds_bpermute_b32 v4, v4, v2
	s_waitcnt lgkmcnt(0)
	v_add_f64 v[1:2], v[1:2], v[3:4]
.LBB3_5:
	s_or_b32 exec_lo, exec_lo, s1
	s_branch .LBB3_36
.LBB3_6:
                                        ; implicit-def: $vgpr1_vgpr2
	s_cbranch_execz .LBB3_36
; %bb.7:
	s_sub_i32 s3, s6, s0
	s_mov_b32 s0, exec_lo
                                        ; implicit-def: $vgpr1_vgpr2_vgpr3_vgpr4_vgpr5_vgpr6_vgpr7_vgpr8
	v_cmpx_gt_u32_e64 s3, v0
	s_cbranch_execz .LBB3_9
; %bb.8:
	global_load_b64 v[1:2], v[9:10], off
.LBB3_9:
	s_or_b32 exec_lo, exec_lo, s0
	v_or_b32_e32 v12, 0x100, v0
	s_delay_alu instid0(VALU_DEP_1)
	v_cmp_gt_u32_e32 vcc_lo, s3, v12
	s_and_saveexec_b32 s0, vcc_lo
	s_cbranch_execz .LBB3_11
; %bb.10:
	global_load_b64 v[3:4], v[9:10], off offset:2048
.LBB3_11:
	s_or_b32 exec_lo, exec_lo, s0
	v_or_b32_e32 v12, 0x200, v0
	s_delay_alu instid0(VALU_DEP_1) | instskip(NEXT) | instid1(VALU_DEP_1)
	v_cmp_gt_u32_e64 s0, s3, v12
	s_and_saveexec_b32 s2, s0
	s_cbranch_execz .LBB3_13
; %bb.12:
	v_add_co_u32 v5, s1, 0x1000, v9
	s_delay_alu instid0(VALU_DEP_1)
	v_add_co_ci_u32_e64 v6, s1, 0, v10, s1
	global_load_b64 v[5:6], v[5:6], off
.LBB3_13:
	s_or_b32 exec_lo, exec_lo, s2
	v_or_b32_e32 v12, 0x300, v0
	s_delay_alu instid0(VALU_DEP_1) | instskip(NEXT) | instid1(VALU_DEP_1)
	v_cmp_gt_u32_e64 s1, s3, v12
	s_and_saveexec_b32 s4, s1
	s_cbranch_execz .LBB3_15
; %bb.14:
	v_add_co_u32 v7, s2, 0x1000, v9
	s_delay_alu instid0(VALU_DEP_1)
	v_add_co_ci_u32_e64 v8, s2, 0, v10, s2
	global_load_b64 v[7:8], v[7:8], off offset:2048
.LBB3_15:
	s_or_b32 exec_lo, exec_lo, s4
	s_waitcnt vmcnt(0)
	v_add_f64 v[3:4], v[1:2], v[3:4]
	s_delay_alu instid0(VALU_DEP_1) | instskip(SKIP_1) | instid1(VALU_DEP_2)
	v_dual_cndmask_b32 v2, v2, v4 :: v_dual_cndmask_b32 v1, v1, v3
	v_cmp_ne_u32_e32 vcc_lo, 31, v11
	v_add_f64 v[3:4], v[5:6], v[1:2]
	v_add_co_ci_u32_e32 v5, vcc_lo, 0, v11, vcc_lo
	v_add_nc_u32_e32 v6, 1, v11
	s_delay_alu instid0(VALU_DEP_2) | instskip(NEXT) | instid1(VALU_DEP_4)
	v_lshlrev_b32_e32 v5, 2, v5
	v_cndmask_b32_e64 v2, v2, v4, s0
	v_cndmask_b32_e64 v1, v1, v3, s0
	s_min_u32 s0, s3, 0x100
	s_delay_alu instid0(VALU_DEP_1) | instskip(NEXT) | instid1(VALU_DEP_1)
	v_add_f64 v[3:4], v[7:8], v[1:2]
	v_cndmask_b32_e64 v1, v1, v3, s1
	s_delay_alu instid0(VALU_DEP_2) | instskip(SKIP_4) | instid1(VALU_DEP_1)
	v_cndmask_b32_e64 v2, v2, v4, s1
	s_mov_b32 s1, exec_lo
	ds_bpermute_b32 v3, v5, v1
	ds_bpermute_b32 v4, v5, v2
	v_and_b32_e32 v5, 0xe0, v0
	v_sub_nc_u32_e64 v5, s0, v5 clamp
	s_delay_alu instid0(VALU_DEP_1)
	v_cmpx_lt_u32_e64 v6, v5
	s_cbranch_execz .LBB3_17
; %bb.16:
	s_waitcnt lgkmcnt(0)
	v_add_f64 v[1:2], v[1:2], v[3:4]
.LBB3_17:
	s_or_b32 exec_lo, exec_lo, s1
	v_cmp_gt_u32_e32 vcc_lo, 30, v11
	v_add_nc_u32_e32 v6, 2, v11
	s_mov_b32 s1, exec_lo
	s_waitcnt lgkmcnt(1)
	v_cndmask_b32_e64 v3, 0, 1, vcc_lo
	s_delay_alu instid0(VALU_DEP_1) | instskip(SKIP_1) | instid1(VALU_DEP_1)
	v_lshlrev_b32_e32 v3, 1, v3
	s_waitcnt lgkmcnt(0)
	v_add_lshl_u32 v4, v3, v11, 2
	ds_bpermute_b32 v3, v4, v1
	ds_bpermute_b32 v4, v4, v2
	v_cmpx_lt_u32_e64 v6, v5
	s_cbranch_execz .LBB3_19
; %bb.18:
	s_waitcnt lgkmcnt(0)
	v_add_f64 v[1:2], v[1:2], v[3:4]
.LBB3_19:
	s_or_b32 exec_lo, exec_lo, s1
	v_cmp_gt_u32_e32 vcc_lo, 28, v11
	v_add_nc_u32_e32 v6, 4, v11
	s_mov_b32 s1, exec_lo
	s_waitcnt lgkmcnt(1)
	v_cndmask_b32_e64 v3, 0, 1, vcc_lo
	s_delay_alu instid0(VALU_DEP_1) | instskip(SKIP_1) | instid1(VALU_DEP_1)
	v_lshlrev_b32_e32 v3, 2, v3
	s_waitcnt lgkmcnt(0)
	v_add_lshl_u32 v4, v3, v11, 2
	ds_bpermute_b32 v3, v4, v1
	ds_bpermute_b32 v4, v4, v2
	;; [unrolled: 18-line block ×4, first 2 shown]
	v_cmpx_lt_u32_e64 v6, v5
	s_cbranch_execz .LBB3_25
; %bb.24:
	s_waitcnt lgkmcnt(0)
	v_add_f64 v[1:2], v[1:2], v[3:4]
.LBB3_25:
	s_or_b32 exec_lo, exec_lo, s1
	s_delay_alu instid0(SALU_CYCLE_1)
	s_mov_b32 s1, exec_lo
	v_cmpx_eq_u32_e32 0, v11
	s_cbranch_execz .LBB3_27
; %bb.26:
	s_waitcnt lgkmcnt(1)
	v_lshrrev_b32_e32 v3, 2, v0
	s_delay_alu instid0(VALU_DEP_1)
	v_and_b32_e32 v3, 56, v3
	ds_store_b64 v3, v[1:2] offset:64
.LBB3_27:
	s_or_b32 exec_lo, exec_lo, s1
	s_delay_alu instid0(SALU_CYCLE_1)
	s_mov_b32 s1, exec_lo
	s_waitcnt lgkmcnt(0)
	s_barrier
	buffer_gl0_inv
	v_cmpx_gt_u32_e32 8, v0
	s_cbranch_execz .LBB3_35
; %bb.28:
	v_lshlrev_b32_e32 v1, 3, v11
	v_and_b32_e32 v5, 7, v11
	s_add_i32 s0, s0, 31
	s_mov_b32 s2, exec_lo
	s_lshr_b32 s0, s0, 5
	ds_load_b64 v[1:2], v1 offset:64
	v_cmp_ne_u32_e32 vcc_lo, 7, v5
	v_add_nc_u32_e32 v6, 1, v5
	v_add_co_ci_u32_e32 v3, vcc_lo, 0, v11, vcc_lo
	s_delay_alu instid0(VALU_DEP_1)
	v_lshlrev_b32_e32 v4, 2, v3
	s_waitcnt lgkmcnt(0)
	ds_bpermute_b32 v3, v4, v1
	ds_bpermute_b32 v4, v4, v2
	v_cmpx_gt_u32_e64 s0, v6
	s_cbranch_execz .LBB3_30
; %bb.29:
	s_waitcnt lgkmcnt(0)
	v_add_f64 v[1:2], v[1:2], v[3:4]
.LBB3_30:
	s_or_b32 exec_lo, exec_lo, s2
	v_cmp_gt_u32_e32 vcc_lo, 6, v5
	v_add_nc_u32_e32 v6, 2, v5
	s_mov_b32 s2, exec_lo
	s_waitcnt lgkmcnt(1)
	v_cndmask_b32_e64 v3, 0, 1, vcc_lo
	s_delay_alu instid0(VALU_DEP_1) | instskip(SKIP_1) | instid1(VALU_DEP_1)
	v_lshlrev_b32_e32 v3, 1, v3
	s_waitcnt lgkmcnt(0)
	v_add_lshl_u32 v4, v3, v11, 2
	ds_bpermute_b32 v3, v4, v1
	ds_bpermute_b32 v4, v4, v2
	v_cmpx_gt_u32_e64 s0, v6
	s_cbranch_execz .LBB3_32
; %bb.31:
	s_waitcnt lgkmcnt(0)
	v_add_f64 v[1:2], v[1:2], v[3:4]
.LBB3_32:
	s_or_b32 exec_lo, exec_lo, s2
	v_cmp_gt_u32_e32 vcc_lo, 4, v5
	v_add_nc_u32_e32 v5, 4, v5
	s_waitcnt lgkmcnt(1)
	v_cndmask_b32_e64 v3, 0, 1, vcc_lo
	s_delay_alu instid0(VALU_DEP_2) | instskip(NEXT) | instid1(VALU_DEP_2)
	v_cmp_gt_u32_e32 vcc_lo, s0, v5
	v_lshlrev_b32_e32 v3, 2, v3
	s_waitcnt lgkmcnt(0)
	s_delay_alu instid0(VALU_DEP_1)
	v_add_lshl_u32 v4, v3, v11, 2
	ds_bpermute_b32 v3, v4, v1
	ds_bpermute_b32 v4, v4, v2
	s_and_saveexec_b32 s0, vcc_lo
	s_cbranch_execz .LBB3_34
; %bb.33:
	s_waitcnt lgkmcnt(0)
	v_add_f64 v[1:2], v[1:2], v[3:4]
.LBB3_34:
	s_or_b32 exec_lo, exec_lo, s0
.LBB3_35:
	s_delay_alu instid0(SALU_CYCLE_1)
	s_or_b32 exec_lo, exec_lo, s1
.LBB3_36:
	s_delay_alu instid0(SALU_CYCLE_1)
	s_mov_b32 s0, exec_lo
	v_cmpx_eq_u32_e32 0, v0
	s_cbranch_execz .LBB3_38
; %bb.37:
	s_lshl_b64 s[0:1], s[12:13], 3
	v_mov_b32_e32 v0, 0
	s_add_u32 s0, s8, s0
	s_addc_u32 s1, s9, s1
	s_cmp_eq_u64 s[6:7], 0
	s_cselect_b32 s2, -1, 0
	s_delay_alu instid0(VALU_DEP_3) | instid1(SALU_CYCLE_1)
	v_cndmask_b32_e64 v2, v2, s11, s2
	s_delay_alu instid0(VALU_DEP_4)
	v_cndmask_b32_e64 v1, v1, s10, s2
	global_store_b64 v0, v[1:2], s[0:1]
.LBB3_38:
	s_nop 0
	s_sendmsg sendmsg(MSG_DEALLOC_VGPRS)
	s_endpgm
	.section	.rodata,"a",@progbits
	.p2align	6, 0x0
	.amdhsa_kernel _ZN7rocprim6detail19block_reduce_kernelILb0ELb1ELj1ENS0_21wrapped_reduce_configINS_14default_configEdEEdPdS5_dN6thrust4plusIdEEEEvT4_mT5_T6_T7_
		.amdhsa_group_segment_fixed_size 128
		.amdhsa_private_segment_fixed_size 0
		.amdhsa_kernarg_size 36
		.amdhsa_user_sgpr_count 15
		.amdhsa_user_sgpr_dispatch_ptr 0
		.amdhsa_user_sgpr_queue_ptr 0
		.amdhsa_user_sgpr_kernarg_segment_ptr 1
		.amdhsa_user_sgpr_dispatch_id 0
		.amdhsa_user_sgpr_private_segment_size 0
		.amdhsa_wavefront_size32 1
		.amdhsa_uses_dynamic_stack 0
		.amdhsa_enable_private_segment 0
		.amdhsa_system_sgpr_workgroup_id_x 1
		.amdhsa_system_sgpr_workgroup_id_y 0
		.amdhsa_system_sgpr_workgroup_id_z 0
		.amdhsa_system_sgpr_workgroup_info 0
		.amdhsa_system_vgpr_workitem_id 0
		.amdhsa_next_free_vgpr 13
		.amdhsa_next_free_sgpr 16
		.amdhsa_reserve_vcc 1
		.amdhsa_float_round_mode_32 0
		.amdhsa_float_round_mode_16_64 0
		.amdhsa_float_denorm_mode_32 3
		.amdhsa_float_denorm_mode_16_64 3
		.amdhsa_dx10_clamp 1
		.amdhsa_ieee_mode 1
		.amdhsa_fp16_overflow 0
		.amdhsa_workgroup_processor_mode 1
		.amdhsa_memory_ordered 1
		.amdhsa_forward_progress 0
		.amdhsa_shared_vgpr_count 0
		.amdhsa_exception_fp_ieee_invalid_op 0
		.amdhsa_exception_fp_denorm_src 0
		.amdhsa_exception_fp_ieee_div_zero 0
		.amdhsa_exception_fp_ieee_overflow 0
		.amdhsa_exception_fp_ieee_underflow 0
		.amdhsa_exception_fp_ieee_inexact 0
		.amdhsa_exception_int_div_zero 0
	.end_amdhsa_kernel
	.section	.text._ZN7rocprim6detail19block_reduce_kernelILb0ELb1ELj1ENS0_21wrapped_reduce_configINS_14default_configEdEEdPdS5_dN6thrust4plusIdEEEEvT4_mT5_T6_T7_,"axG",@progbits,_ZN7rocprim6detail19block_reduce_kernelILb0ELb1ELj1ENS0_21wrapped_reduce_configINS_14default_configEdEEdPdS5_dN6thrust4plusIdEEEEvT4_mT5_T6_T7_,comdat
.Lfunc_end3:
	.size	_ZN7rocprim6detail19block_reduce_kernelILb0ELb1ELj1ENS0_21wrapped_reduce_configINS_14default_configEdEEdPdS5_dN6thrust4plusIdEEEEvT4_mT5_T6_T7_, .Lfunc_end3-_ZN7rocprim6detail19block_reduce_kernelILb0ELb1ELj1ENS0_21wrapped_reduce_configINS_14default_configEdEEdPdS5_dN6thrust4plusIdEEEEvT4_mT5_T6_T7_
                                        ; -- End function
	.section	.AMDGPU.csdata,"",@progbits
; Kernel info:
; codeLenInByte = 1772
; NumSgprs: 18
; NumVgprs: 13
; ScratchSize: 0
; MemoryBound: 1
; FloatMode: 240
; IeeeMode: 1
; LDSByteSize: 128 bytes/workgroup (compile time only)
; SGPRBlocks: 2
; VGPRBlocks: 1
; NumSGPRsForWavesPerEU: 18
; NumVGPRsForWavesPerEU: 13
; Occupancy: 16
; WaveLimiterHint : 1
; COMPUTE_PGM_RSRC2:SCRATCH_EN: 0
; COMPUTE_PGM_RSRC2:USER_SGPR: 15
; COMPUTE_PGM_RSRC2:TRAP_HANDLER: 0
; COMPUTE_PGM_RSRC2:TGID_X_EN: 1
; COMPUTE_PGM_RSRC2:TGID_Y_EN: 0
; COMPUTE_PGM_RSRC2:TGID_Z_EN: 0
; COMPUTE_PGM_RSRC2:TIDIG_COMP_CNT: 0
	.section	.text._ZN7rocprim6detail19block_reduce_kernelILb1ELb1ELj2ENS0_21wrapped_reduce_configINS_14default_configEdEEdPdS5_dN6thrust4plusIdEEEEvT4_mT5_T6_T7_,"axG",@progbits,_ZN7rocprim6detail19block_reduce_kernelILb1ELb1ELj2ENS0_21wrapped_reduce_configINS_14default_configEdEEdPdS5_dN6thrust4plusIdEEEEvT4_mT5_T6_T7_,comdat
	.protected	_ZN7rocprim6detail19block_reduce_kernelILb1ELb1ELj2ENS0_21wrapped_reduce_configINS_14default_configEdEEdPdS5_dN6thrust4plusIdEEEEvT4_mT5_T6_T7_ ; -- Begin function _ZN7rocprim6detail19block_reduce_kernelILb1ELb1ELj2ENS0_21wrapped_reduce_configINS_14default_configEdEEdPdS5_dN6thrust4plusIdEEEEvT4_mT5_T6_T7_
	.globl	_ZN7rocprim6detail19block_reduce_kernelILb1ELb1ELj2ENS0_21wrapped_reduce_configINS_14default_configEdEEdPdS5_dN6thrust4plusIdEEEEvT4_mT5_T6_T7_
	.p2align	8
	.type	_ZN7rocprim6detail19block_reduce_kernelILb1ELb1ELj2ENS0_21wrapped_reduce_configINS_14default_configEdEEdPdS5_dN6thrust4plusIdEEEEvT4_mT5_T6_T7_,@function
_ZN7rocprim6detail19block_reduce_kernelILb1ELb1ELj2ENS0_21wrapped_reduce_configINS_14default_configEdEEdPdS5_dN6thrust4plusIdEEEEvT4_mT5_T6_T7_: ; @_ZN7rocprim6detail19block_reduce_kernelILb1ELb1ELj2ENS0_21wrapped_reduce_configINS_14default_configEdEEdPdS5_dN6thrust4plusIdEEEEvT4_mT5_T6_T7_
; %bb.0:
	s_mov_b32 s16, s15
	s_load_b256 s[8:15], s[0:1], 0x0
	s_mov_b32 s1, 0
	s_lshl_b32 s0, s16, 11
	v_lshlrev_b32_e32 v1, 3, v0
	s_lshl_b64 s[2:3], s[0:1], 3
	s_mov_b32 s17, s1
	v_mbcnt_lo_u32_b32 v19, -1, 0
	s_waitcnt lgkmcnt(0)
	s_lshr_b64 s[4:5], s[10:11], 11
	s_add_u32 s1, s8, s2
	s_addc_u32 s2, s9, s3
	v_add_co_u32 v17, s1, s1, v1
	s_delay_alu instid0(VALU_DEP_1)
	v_add_co_ci_u32_e64 v18, null, s2, 0, s1
	s_cmp_lg_u64 s[4:5], s[16:17]
	s_cbranch_scc0 .LBB4_6
; %bb.1:
	s_clause 0x1
	global_load_b64 v[1:2], v[17:18], off
	global_load_b64 v[3:4], v[17:18], off offset:2048
	v_add_co_u32 v5, vcc_lo, v17, 0x2000
	v_add_co_ci_u32_e32 v6, vcc_lo, 0, v18, vcc_lo
	v_add_co_u32 v9, vcc_lo, 0x1000, v17
	v_add_co_ci_u32_e32 v10, vcc_lo, 0, v18, vcc_lo
	s_clause 0x2
	global_load_b64 v[7:8], v[5:6], off offset:-4096
	global_load_b64 v[9:10], v[9:10], off offset:2048
	global_load_b64 v[5:6], v[5:6], off
	v_add_co_u32 v11, vcc_lo, 0x2000, v17
	v_add_co_ci_u32_e32 v12, vcc_lo, 0, v18, vcc_lo
	v_add_co_u32 v13, vcc_lo, 0x3000, v17
	v_add_co_ci_u32_e32 v14, vcc_lo, 0, v18, vcc_lo
	s_clause 0x2
	global_load_b64 v[11:12], v[11:12], off offset:2048
	global_load_b64 v[15:16], v[13:14], off
	global_load_b64 v[13:14], v[13:14], off offset:2048
	s_mov_b32 s1, exec_lo
	s_waitcnt vmcnt(6)
	v_add_f64 v[1:2], v[1:2], v[3:4]
	s_waitcnt vmcnt(5)
	s_delay_alu instid0(VALU_DEP_1) | instskip(SKIP_1) | instid1(VALU_DEP_1)
	v_add_f64 v[1:2], v[1:2], v[7:8]
	s_waitcnt vmcnt(4)
	v_add_f64 v[1:2], v[1:2], v[9:10]
	s_waitcnt vmcnt(3)
	s_delay_alu instid0(VALU_DEP_1) | instskip(SKIP_1) | instid1(VALU_DEP_1)
	v_add_f64 v[1:2], v[1:2], v[5:6]
	;; [unrolled: 5-line block ×3, first 2 shown]
	s_waitcnt vmcnt(0)
	v_add_f64 v[1:2], v[1:2], v[13:14]
	s_delay_alu instid0(VALU_DEP_1) | instskip(NEXT) | instid1(VALU_DEP_2)
	v_mov_b32_dpp v3, v1 quad_perm:[1,0,3,2] row_mask:0xf bank_mask:0xf
	v_mov_b32_dpp v4, v2 quad_perm:[1,0,3,2] row_mask:0xf bank_mask:0xf
	s_delay_alu instid0(VALU_DEP_1) | instskip(NEXT) | instid1(VALU_DEP_1)
	v_add_f64 v[1:2], v[1:2], v[3:4]
	v_mov_b32_dpp v3, v1 quad_perm:[2,3,0,1] row_mask:0xf bank_mask:0xf
	s_delay_alu instid0(VALU_DEP_2) | instskip(NEXT) | instid1(VALU_DEP_1)
	v_mov_b32_dpp v4, v2 quad_perm:[2,3,0,1] row_mask:0xf bank_mask:0xf
	v_add_f64 v[1:2], v[1:2], v[3:4]
	s_delay_alu instid0(VALU_DEP_1) | instskip(NEXT) | instid1(VALU_DEP_2)
	v_mov_b32_dpp v3, v1 row_ror:4 row_mask:0xf bank_mask:0xf
	v_mov_b32_dpp v4, v2 row_ror:4 row_mask:0xf bank_mask:0xf
	s_delay_alu instid0(VALU_DEP_1) | instskip(NEXT) | instid1(VALU_DEP_1)
	v_add_f64 v[1:2], v[1:2], v[3:4]
	v_mov_b32_dpp v3, v1 row_ror:8 row_mask:0xf bank_mask:0xf
	s_delay_alu instid0(VALU_DEP_2) | instskip(NEXT) | instid1(VALU_DEP_1)
	v_mov_b32_dpp v4, v2 row_ror:8 row_mask:0xf bank_mask:0xf
	v_add_f64 v[1:2], v[1:2], v[3:4]
	ds_swizzle_b32 v3, v1 offset:swizzle(BROADCAST,32,15)
	ds_swizzle_b32 v4, v2 offset:swizzle(BROADCAST,32,15)
	s_waitcnt lgkmcnt(0)
	v_add_f64 v[1:2], v[1:2], v[3:4]
	v_mov_b32_e32 v3, 0
	ds_bpermute_b32 v1, v3, v1 offset:124
	ds_bpermute_b32 v2, v3, v2 offset:124
	v_cmpx_eq_u32_e32 0, v19
	s_cbranch_execz .LBB4_3
; %bb.2:
	v_lshrrev_b32_e32 v3, 2, v0
	s_delay_alu instid0(VALU_DEP_1)
	v_and_b32_e32 v3, 56, v3
	s_waitcnt lgkmcnt(0)
	ds_store_b64 v3, v[1:2]
.LBB4_3:
	s_or_b32 exec_lo, exec_lo, s1
	s_delay_alu instid0(SALU_CYCLE_1)
	s_mov_b32 s1, exec_lo
	s_waitcnt lgkmcnt(0)
	s_barrier
	buffer_gl0_inv
	v_cmpx_gt_u32_e32 32, v0
	s_cbranch_execz .LBB4_5
; %bb.4:
	v_and_b32_e32 v5, 7, v19
	s_delay_alu instid0(VALU_DEP_1) | instskip(SKIP_4) | instid1(VALU_DEP_2)
	v_lshlrev_b32_e32 v1, 3, v5
	v_cmp_ne_u32_e32 vcc_lo, 7, v5
	ds_load_b64 v[1:2], v1
	v_add_co_ci_u32_e32 v3, vcc_lo, 0, v19, vcc_lo
	v_cmp_gt_u32_e32 vcc_lo, 6, v5
	v_lshlrev_b32_e32 v4, 2, v3
	s_waitcnt lgkmcnt(0)
	ds_bpermute_b32 v3, v4, v1
	ds_bpermute_b32 v4, v4, v2
	s_waitcnt lgkmcnt(0)
	v_add_f64 v[1:2], v[1:2], v[3:4]
	v_cndmask_b32_e64 v3, 0, 1, vcc_lo
	v_cmp_gt_u32_e32 vcc_lo, 4, v5
	s_delay_alu instid0(VALU_DEP_2) | instskip(NEXT) | instid1(VALU_DEP_1)
	v_lshlrev_b32_e32 v3, 1, v3
	v_add_lshl_u32 v4, v3, v19, 2
	ds_bpermute_b32 v3, v4, v1
	ds_bpermute_b32 v4, v4, v2
	s_waitcnt lgkmcnt(0)
	v_add_f64 v[1:2], v[1:2], v[3:4]
	v_cndmask_b32_e64 v3, 0, 1, vcc_lo
	s_delay_alu instid0(VALU_DEP_1) | instskip(NEXT) | instid1(VALU_DEP_1)
	v_lshlrev_b32_e32 v3, 2, v3
	v_add_lshl_u32 v4, v3, v19, 2
	ds_bpermute_b32 v3, v4, v1
	ds_bpermute_b32 v4, v4, v2
	s_waitcnt lgkmcnt(0)
	v_add_f64 v[1:2], v[1:2], v[3:4]
.LBB4_5:
	s_or_b32 exec_lo, exec_lo, s1
	s_branch .LBB4_44
.LBB4_6:
                                        ; implicit-def: $vgpr1_vgpr2
	s_cbranch_execz .LBB4_44
; %bb.7:
	s_sub_i32 s7, s10, s0
	s_mov_b32 s0, exec_lo
                                        ; implicit-def: $vgpr1_vgpr2_vgpr3_vgpr4_vgpr5_vgpr6_vgpr7_vgpr8_vgpr9_vgpr10_vgpr11_vgpr12_vgpr13_vgpr14_vgpr15_vgpr16
	v_cmpx_gt_u32_e64 s7, v0
	s_cbranch_execz .LBB4_9
; %bb.8:
	global_load_b64 v[1:2], v[17:18], off
.LBB4_9:
	s_or_b32 exec_lo, exec_lo, s0
	v_or_b32_e32 v20, 0x100, v0
	s_delay_alu instid0(VALU_DEP_1)
	v_cmp_gt_u32_e32 vcc_lo, s7, v20
	s_and_saveexec_b32 s0, vcc_lo
	s_cbranch_execz .LBB4_11
; %bb.10:
	global_load_b64 v[3:4], v[17:18], off offset:2048
.LBB4_11:
	s_or_b32 exec_lo, exec_lo, s0
	v_or_b32_e32 v20, 0x200, v0
	s_delay_alu instid0(VALU_DEP_1) | instskip(NEXT) | instid1(VALU_DEP_1)
	v_cmp_gt_u32_e64 s0, s7, v20
	s_and_saveexec_b32 s2, s0
	s_cbranch_execz .LBB4_13
; %bb.12:
	v_add_co_u32 v5, s1, 0x1000, v17
	s_delay_alu instid0(VALU_DEP_1)
	v_add_co_ci_u32_e64 v6, s1, 0, v18, s1
	global_load_b64 v[5:6], v[5:6], off
.LBB4_13:
	s_or_b32 exec_lo, exec_lo, s2
	v_or_b32_e32 v20, 0x300, v0
	s_delay_alu instid0(VALU_DEP_1) | instskip(NEXT) | instid1(VALU_DEP_1)
	v_cmp_gt_u32_e64 s1, s7, v20
	s_and_saveexec_b32 s3, s1
	s_cbranch_execz .LBB4_15
; %bb.14:
	v_add_co_u32 v7, s2, 0x1000, v17
	s_delay_alu instid0(VALU_DEP_1)
	v_add_co_ci_u32_e64 v8, s2, 0, v18, s2
	global_load_b64 v[7:8], v[7:8], off offset:2048
.LBB4_15:
	s_or_b32 exec_lo, exec_lo, s3
	v_or_b32_e32 v20, 0x400, v0
	s_delay_alu instid0(VALU_DEP_1) | instskip(NEXT) | instid1(VALU_DEP_1)
	v_cmp_gt_u32_e64 s2, s7, v20
	s_and_saveexec_b32 s4, s2
	s_cbranch_execz .LBB4_17
; %bb.16:
	v_add_co_u32 v9, s3, 0x2000, v17
	s_delay_alu instid0(VALU_DEP_1)
	v_add_co_ci_u32_e64 v10, s3, 0, v18, s3
	global_load_b64 v[9:10], v[9:10], off
.LBB4_17:
	s_or_b32 exec_lo, exec_lo, s4
	v_or_b32_e32 v20, 0x500, v0
	s_delay_alu instid0(VALU_DEP_1) | instskip(NEXT) | instid1(VALU_DEP_1)
	v_cmp_gt_u32_e64 s3, s7, v20
	s_and_saveexec_b32 s5, s3
	s_cbranch_execz .LBB4_19
; %bb.18:
	v_add_co_u32 v11, s4, 0x2000, v17
	s_delay_alu instid0(VALU_DEP_1)
	v_add_co_ci_u32_e64 v12, s4, 0, v18, s4
	global_load_b64 v[11:12], v[11:12], off offset:2048
.LBB4_19:
	;; [unrolled: 24-line block ×3, first 2 shown]
	s_or_b32 exec_lo, exec_lo, s8
	s_waitcnt vmcnt(0)
	v_add_f64 v[3:4], v[1:2], v[3:4]
	s_delay_alu instid0(VALU_DEP_1) | instskip(SKIP_1) | instid1(VALU_DEP_2)
	v_dual_cndmask_b32 v2, v2, v4 :: v_dual_cndmask_b32 v1, v1, v3
	v_cmp_ne_u32_e32 vcc_lo, 31, v19
	v_add_f64 v[3:4], v[5:6], v[1:2]
	v_add_co_ci_u32_e32 v5, vcc_lo, 0, v19, vcc_lo
	v_add_nc_u32_e32 v6, 1, v19
	s_delay_alu instid0(VALU_DEP_2) | instskip(NEXT) | instid1(VALU_DEP_4)
	v_lshlrev_b32_e32 v5, 2, v5
	v_cndmask_b32_e64 v2, v2, v4, s0
	v_cndmask_b32_e64 v1, v1, v3, s0
	s_min_u32 s0, s7, 0x100
	s_delay_alu instid0(VALU_DEP_1) | instskip(NEXT) | instid1(VALU_DEP_1)
	v_add_f64 v[3:4], v[7:8], v[1:2]
	v_cndmask_b32_e64 v2, v2, v4, s1
	s_delay_alu instid0(VALU_DEP_2) | instskip(SKIP_1) | instid1(VALU_DEP_1)
	v_cndmask_b32_e64 v1, v1, v3, s1
	s_mov_b32 s1, exec_lo
	v_add_f64 v[3:4], v[9:10], v[1:2]
	s_delay_alu instid0(VALU_DEP_1) | instskip(NEXT) | instid1(VALU_DEP_2)
	v_cndmask_b32_e64 v2, v2, v4, s2
	v_cndmask_b32_e64 v1, v1, v3, s2
	s_delay_alu instid0(VALU_DEP_1) | instskip(NEXT) | instid1(VALU_DEP_1)
	v_add_f64 v[3:4], v[11:12], v[1:2]
	v_cndmask_b32_e64 v2, v2, v4, s3
	s_delay_alu instid0(VALU_DEP_2) | instskip(NEXT) | instid1(VALU_DEP_1)
	v_cndmask_b32_e64 v1, v1, v3, s3
	v_add_f64 v[3:4], v[13:14], v[1:2]
	s_delay_alu instid0(VALU_DEP_1) | instskip(NEXT) | instid1(VALU_DEP_2)
	v_cndmask_b32_e64 v2, v2, v4, s4
	v_cndmask_b32_e64 v1, v1, v3, s4
	s_delay_alu instid0(VALU_DEP_1) | instskip(NEXT) | instid1(VALU_DEP_1)
	v_add_f64 v[3:4], v[15:16], v[1:2]
	v_cndmask_b32_e64 v1, v1, v3, s5
	s_delay_alu instid0(VALU_DEP_2) | instskip(SKIP_3) | instid1(VALU_DEP_1)
	v_cndmask_b32_e64 v2, v2, v4, s5
	ds_bpermute_b32 v3, v5, v1
	ds_bpermute_b32 v4, v5, v2
	v_and_b32_e32 v5, 0xe0, v0
	v_sub_nc_u32_e64 v5, s0, v5 clamp
	s_delay_alu instid0(VALU_DEP_1)
	v_cmpx_lt_u32_e64 v6, v5
	s_cbranch_execz .LBB4_25
; %bb.24:
	s_waitcnt lgkmcnt(0)
	v_add_f64 v[1:2], v[1:2], v[3:4]
.LBB4_25:
	s_or_b32 exec_lo, exec_lo, s1
	v_cmp_gt_u32_e32 vcc_lo, 30, v19
	v_add_nc_u32_e32 v6, 2, v19
	s_mov_b32 s1, exec_lo
	s_waitcnt lgkmcnt(1)
	v_cndmask_b32_e64 v3, 0, 1, vcc_lo
	s_delay_alu instid0(VALU_DEP_1) | instskip(SKIP_1) | instid1(VALU_DEP_1)
	v_lshlrev_b32_e32 v3, 1, v3
	s_waitcnt lgkmcnt(0)
	v_add_lshl_u32 v4, v3, v19, 2
	ds_bpermute_b32 v3, v4, v1
	ds_bpermute_b32 v4, v4, v2
	v_cmpx_lt_u32_e64 v6, v5
	s_cbranch_execz .LBB4_27
; %bb.26:
	s_waitcnt lgkmcnt(0)
	v_add_f64 v[1:2], v[1:2], v[3:4]
.LBB4_27:
	s_or_b32 exec_lo, exec_lo, s1
	v_cmp_gt_u32_e32 vcc_lo, 28, v19
	v_add_nc_u32_e32 v6, 4, v19
	s_mov_b32 s1, exec_lo
	s_waitcnt lgkmcnt(1)
	v_cndmask_b32_e64 v3, 0, 1, vcc_lo
	s_delay_alu instid0(VALU_DEP_1) | instskip(SKIP_1) | instid1(VALU_DEP_1)
	v_lshlrev_b32_e32 v3, 2, v3
	s_waitcnt lgkmcnt(0)
	v_add_lshl_u32 v4, v3, v19, 2
	ds_bpermute_b32 v3, v4, v1
	ds_bpermute_b32 v4, v4, v2
	;; [unrolled: 18-line block ×4, first 2 shown]
	v_cmpx_lt_u32_e64 v6, v5
	s_cbranch_execz .LBB4_33
; %bb.32:
	s_waitcnt lgkmcnt(0)
	v_add_f64 v[1:2], v[1:2], v[3:4]
.LBB4_33:
	s_or_b32 exec_lo, exec_lo, s1
	s_delay_alu instid0(SALU_CYCLE_1)
	s_mov_b32 s1, exec_lo
	v_cmpx_eq_u32_e32 0, v19
	s_cbranch_execz .LBB4_35
; %bb.34:
	s_waitcnt lgkmcnt(1)
	v_lshrrev_b32_e32 v3, 2, v0
	s_delay_alu instid0(VALU_DEP_1)
	v_and_b32_e32 v3, 56, v3
	ds_store_b64 v3, v[1:2] offset:64
.LBB4_35:
	s_or_b32 exec_lo, exec_lo, s1
	s_delay_alu instid0(SALU_CYCLE_1)
	s_mov_b32 s1, exec_lo
	s_waitcnt lgkmcnt(0)
	s_barrier
	buffer_gl0_inv
	v_cmpx_gt_u32_e32 8, v0
	s_cbranch_execz .LBB4_43
; %bb.36:
	v_lshlrev_b32_e32 v1, 3, v19
	v_and_b32_e32 v5, 7, v19
	s_add_i32 s0, s0, 31
	s_mov_b32 s2, exec_lo
	s_lshr_b32 s0, s0, 5
	ds_load_b64 v[1:2], v1 offset:64
	v_cmp_ne_u32_e32 vcc_lo, 7, v5
	v_add_nc_u32_e32 v6, 1, v5
	v_add_co_ci_u32_e32 v3, vcc_lo, 0, v19, vcc_lo
	s_delay_alu instid0(VALU_DEP_1)
	v_lshlrev_b32_e32 v4, 2, v3
	s_waitcnt lgkmcnt(0)
	ds_bpermute_b32 v3, v4, v1
	ds_bpermute_b32 v4, v4, v2
	v_cmpx_gt_u32_e64 s0, v6
	s_cbranch_execz .LBB4_38
; %bb.37:
	s_waitcnt lgkmcnt(0)
	v_add_f64 v[1:2], v[1:2], v[3:4]
.LBB4_38:
	s_or_b32 exec_lo, exec_lo, s2
	v_cmp_gt_u32_e32 vcc_lo, 6, v5
	v_add_nc_u32_e32 v6, 2, v5
	s_mov_b32 s2, exec_lo
	s_waitcnt lgkmcnt(1)
	v_cndmask_b32_e64 v3, 0, 1, vcc_lo
	s_delay_alu instid0(VALU_DEP_1) | instskip(SKIP_1) | instid1(VALU_DEP_1)
	v_lshlrev_b32_e32 v3, 1, v3
	s_waitcnt lgkmcnt(0)
	v_add_lshl_u32 v4, v3, v19, 2
	ds_bpermute_b32 v3, v4, v1
	ds_bpermute_b32 v4, v4, v2
	v_cmpx_gt_u32_e64 s0, v6
	s_cbranch_execz .LBB4_40
; %bb.39:
	s_waitcnt lgkmcnt(0)
	v_add_f64 v[1:2], v[1:2], v[3:4]
.LBB4_40:
	s_or_b32 exec_lo, exec_lo, s2
	v_cmp_gt_u32_e32 vcc_lo, 4, v5
	v_add_nc_u32_e32 v5, 4, v5
	s_waitcnt lgkmcnt(1)
	v_cndmask_b32_e64 v3, 0, 1, vcc_lo
	s_delay_alu instid0(VALU_DEP_2) | instskip(NEXT) | instid1(VALU_DEP_2)
	v_cmp_gt_u32_e32 vcc_lo, s0, v5
	v_lshlrev_b32_e32 v3, 2, v3
	s_waitcnt lgkmcnt(0)
	s_delay_alu instid0(VALU_DEP_1)
	v_add_lshl_u32 v4, v3, v19, 2
	ds_bpermute_b32 v3, v4, v1
	ds_bpermute_b32 v4, v4, v2
	s_and_saveexec_b32 s0, vcc_lo
	s_cbranch_execz .LBB4_42
; %bb.41:
	s_waitcnt lgkmcnt(0)
	v_add_f64 v[1:2], v[1:2], v[3:4]
.LBB4_42:
	s_or_b32 exec_lo, exec_lo, s0
.LBB4_43:
	s_delay_alu instid0(SALU_CYCLE_1)
	s_or_b32 exec_lo, exec_lo, s1
.LBB4_44:
	s_delay_alu instid0(SALU_CYCLE_1)
	s_mov_b32 s0, exec_lo
	v_cmpx_eq_u32_e32 0, v0
	s_cbranch_execz .LBB4_46
; %bb.45:
	s_delay_alu instid0(VALU_DEP_2)
	v_add_f64 v[0:1], v[1:2], s[14:15]
	s_lshl_b64 s[0:1], s[16:17], 3
	v_mov_b32_e32 v2, 0
	s_add_u32 s0, s12, s0
	s_addc_u32 s1, s13, s1
	s_cmp_eq_u64 s[10:11], 0
	s_cselect_b32 s2, -1, 0
	s_delay_alu instid0(VALU_DEP_2) | instid1(SALU_CYCLE_1)
	v_cndmask_b32_e64 v1, v1, s15, s2
	s_delay_alu instid0(VALU_DEP_3)
	v_cndmask_b32_e64 v0, v0, s14, s2
	global_store_b64 v2, v[0:1], s[0:1]
.LBB4_46:
	s_nop 0
	s_sendmsg sendmsg(MSG_DEALLOC_VGPRS)
	s_endpgm
	.section	.rodata,"a",@progbits
	.p2align	6, 0x0
	.amdhsa_kernel _ZN7rocprim6detail19block_reduce_kernelILb1ELb1ELj2ENS0_21wrapped_reduce_configINS_14default_configEdEEdPdS5_dN6thrust4plusIdEEEEvT4_mT5_T6_T7_
		.amdhsa_group_segment_fixed_size 128
		.amdhsa_private_segment_fixed_size 0
		.amdhsa_kernarg_size 36
		.amdhsa_user_sgpr_count 15
		.amdhsa_user_sgpr_dispatch_ptr 0
		.amdhsa_user_sgpr_queue_ptr 0
		.amdhsa_user_sgpr_kernarg_segment_ptr 1
		.amdhsa_user_sgpr_dispatch_id 0
		.amdhsa_user_sgpr_private_segment_size 0
		.amdhsa_wavefront_size32 1
		.amdhsa_uses_dynamic_stack 0
		.amdhsa_enable_private_segment 0
		.amdhsa_system_sgpr_workgroup_id_x 1
		.amdhsa_system_sgpr_workgroup_id_y 0
		.amdhsa_system_sgpr_workgroup_id_z 0
		.amdhsa_system_sgpr_workgroup_info 0
		.amdhsa_system_vgpr_workitem_id 0
		.amdhsa_next_free_vgpr 21
		.amdhsa_next_free_sgpr 18
		.amdhsa_reserve_vcc 1
		.amdhsa_float_round_mode_32 0
		.amdhsa_float_round_mode_16_64 0
		.amdhsa_float_denorm_mode_32 3
		.amdhsa_float_denorm_mode_16_64 3
		.amdhsa_dx10_clamp 1
		.amdhsa_ieee_mode 1
		.amdhsa_fp16_overflow 0
		.amdhsa_workgroup_processor_mode 1
		.amdhsa_memory_ordered 1
		.amdhsa_forward_progress 0
		.amdhsa_shared_vgpr_count 0
		.amdhsa_exception_fp_ieee_invalid_op 0
		.amdhsa_exception_fp_denorm_src 0
		.amdhsa_exception_fp_ieee_div_zero 0
		.amdhsa_exception_fp_ieee_overflow 0
		.amdhsa_exception_fp_ieee_underflow 0
		.amdhsa_exception_fp_ieee_inexact 0
		.amdhsa_exception_int_div_zero 0
	.end_amdhsa_kernel
	.section	.text._ZN7rocprim6detail19block_reduce_kernelILb1ELb1ELj2ENS0_21wrapped_reduce_configINS_14default_configEdEEdPdS5_dN6thrust4plusIdEEEEvT4_mT5_T6_T7_,"axG",@progbits,_ZN7rocprim6detail19block_reduce_kernelILb1ELb1ELj2ENS0_21wrapped_reduce_configINS_14default_configEdEEdPdS5_dN6thrust4plusIdEEEEvT4_mT5_T6_T7_,comdat
.Lfunc_end4:
	.size	_ZN7rocprim6detail19block_reduce_kernelILb1ELb1ELj2ENS0_21wrapped_reduce_configINS_14default_configEdEEdPdS5_dN6thrust4plusIdEEEEvT4_mT5_T6_T7_, .Lfunc_end4-_ZN7rocprim6detail19block_reduce_kernelILb1ELb1ELj2ENS0_21wrapped_reduce_configINS_14default_configEdEEdPdS5_dN6thrust4plusIdEEEEvT4_mT5_T6_T7_
                                        ; -- End function
	.section	.AMDGPU.csdata,"",@progbits
; Kernel info:
; codeLenInByte = 2300
; NumSgprs: 20
; NumVgprs: 21
; ScratchSize: 0
; MemoryBound: 1
; FloatMode: 240
; IeeeMode: 1
; LDSByteSize: 128 bytes/workgroup (compile time only)
; SGPRBlocks: 2
; VGPRBlocks: 2
; NumSGPRsForWavesPerEU: 20
; NumVGPRsForWavesPerEU: 21
; Occupancy: 16
; WaveLimiterHint : 1
; COMPUTE_PGM_RSRC2:SCRATCH_EN: 0
; COMPUTE_PGM_RSRC2:USER_SGPR: 15
; COMPUTE_PGM_RSRC2:TRAP_HANDLER: 0
; COMPUTE_PGM_RSRC2:TGID_X_EN: 1
; COMPUTE_PGM_RSRC2:TGID_Y_EN: 0
; COMPUTE_PGM_RSRC2:TGID_Z_EN: 0
; COMPUTE_PGM_RSRC2:TIDIG_COMP_CNT: 0
	.section	.text._ZN7rocprim6detail19block_reduce_kernelILb1ELb1ELj4ENS0_21wrapped_reduce_configINS_14default_configEdEEdPdS5_dN6thrust4plusIdEEEEvT4_mT5_T6_T7_,"axG",@progbits,_ZN7rocprim6detail19block_reduce_kernelILb1ELb1ELj4ENS0_21wrapped_reduce_configINS_14default_configEdEEdPdS5_dN6thrust4plusIdEEEEvT4_mT5_T6_T7_,comdat
	.protected	_ZN7rocprim6detail19block_reduce_kernelILb1ELb1ELj4ENS0_21wrapped_reduce_configINS_14default_configEdEEdPdS5_dN6thrust4plusIdEEEEvT4_mT5_T6_T7_ ; -- Begin function _ZN7rocprim6detail19block_reduce_kernelILb1ELb1ELj4ENS0_21wrapped_reduce_configINS_14default_configEdEEdPdS5_dN6thrust4plusIdEEEEvT4_mT5_T6_T7_
	.globl	_ZN7rocprim6detail19block_reduce_kernelILb1ELb1ELj4ENS0_21wrapped_reduce_configINS_14default_configEdEEdPdS5_dN6thrust4plusIdEEEEvT4_mT5_T6_T7_
	.p2align	8
	.type	_ZN7rocprim6detail19block_reduce_kernelILb1ELb1ELj4ENS0_21wrapped_reduce_configINS_14default_configEdEEdPdS5_dN6thrust4plusIdEEEEvT4_mT5_T6_T7_,@function
_ZN7rocprim6detail19block_reduce_kernelILb1ELb1ELj4ENS0_21wrapped_reduce_configINS_14default_configEdEEdPdS5_dN6thrust4plusIdEEEEvT4_mT5_T6_T7_: ; @_ZN7rocprim6detail19block_reduce_kernelILb1ELb1ELj4ENS0_21wrapped_reduce_configINS_14default_configEdEEdPdS5_dN6thrust4plusIdEEEEvT4_mT5_T6_T7_
; %bb.0:
	s_load_b256 s[16:23], s[0:1], 0x0
	s_mov_b32 s1, 0
	s_lshl_b32 s0, s15, 12
	v_lshlrev_b32_e32 v1, 3, v0
	s_lshl_b64 s[2:3], s[0:1], 3
	s_mov_b32 s25, s1
	v_mbcnt_lo_u32_b32 v35, -1, 0
	s_mov_b32 s24, s15
	s_waitcnt lgkmcnt(0)
	s_lshr_b64 s[4:5], s[18:19], 12
	s_add_u32 s1, s16, s2
	s_addc_u32 s2, s17, s3
	v_add_co_u32 v33, s1, s1, v1
	s_delay_alu instid0(VALU_DEP_1)
	v_add_co_ci_u32_e64 v34, null, s2, 0, s1
	s_cmp_lg_u64 s[4:5], s[24:25]
	s_cbranch_scc0 .LBB5_6
; %bb.1:
	s_clause 0x1
	global_load_b64 v[1:2], v[33:34], off
	global_load_b64 v[3:4], v[33:34], off offset:2048
	v_add_co_u32 v5, vcc_lo, v33, 0x2000
	v_add_co_ci_u32_e32 v6, vcc_lo, 0, v34, vcc_lo
	v_add_co_u32 v9, vcc_lo, 0x1000, v33
	v_add_co_ci_u32_e32 v10, vcc_lo, 0, v34, vcc_lo
	s_clause 0x2
	global_load_b64 v[7:8], v[5:6], off offset:-4096
	global_load_b64 v[9:10], v[9:10], off offset:2048
	global_load_b64 v[5:6], v[5:6], off
	v_add_co_u32 v11, vcc_lo, 0x2000, v33
	v_add_co_ci_u32_e32 v12, vcc_lo, 0, v34, vcc_lo
	v_add_co_u32 v13, vcc_lo, v33, 0x4000
	v_add_co_ci_u32_e32 v14, vcc_lo, 0, v34, vcc_lo
	global_load_b64 v[11:12], v[11:12], off offset:2048
	v_add_co_u32 v17, vcc_lo, 0x3000, v33
	global_load_b64 v[15:16], v[13:14], off offset:-4096
	v_add_co_ci_u32_e32 v18, vcc_lo, 0, v34, vcc_lo
	s_clause 0x1
	global_load_b64 v[17:18], v[17:18], off offset:2048
	global_load_b64 v[13:14], v[13:14], off
	v_add_co_u32 v19, vcc_lo, 0x4000, v33
	v_add_co_ci_u32_e32 v20, vcc_lo, 0, v34, vcc_lo
	s_mov_b32 s1, exec_lo
	global_load_b64 v[19:20], v[19:20], off offset:2048
	s_waitcnt vmcnt(8)
	v_add_f64 v[1:2], v[1:2], v[3:4]
	v_add_co_u32 v3, vcc_lo, v33, 0x6000
	v_add_co_ci_u32_e32 v4, vcc_lo, 0, v34, vcc_lo
	v_add_co_u32 v23, vcc_lo, 0x7000, v33
	v_add_co_ci_u32_e32 v24, vcc_lo, 0, v34, vcc_lo
	s_clause 0x1
	global_load_b64 v[21:22], v[3:4], off offset:-4096
	global_load_b64 v[25:26], v[23:24], off offset:2048
	s_waitcnt vmcnt(9)
	v_add_f64 v[1:2], v[1:2], v[7:8]
	v_add_co_u32 v7, vcc_lo, 0x5000, v33
	v_add_co_ci_u32_e32 v8, vcc_lo, 0, v34, vcc_lo
	global_load_b64 v[7:8], v[7:8], off offset:2048
	s_waitcnt vmcnt(9)
	v_add_f64 v[1:2], v[1:2], v[9:10]
	global_load_b64 v[9:10], v[23:24], off
	s_waitcnt vmcnt(9)
	v_add_f64 v[1:2], v[1:2], v[5:6]
	v_add_co_u32 v5, vcc_lo, 0x6000, v33
	v_add_co_ci_u32_e32 v6, vcc_lo, 0, v34, vcc_lo
	s_clause 0x1
	global_load_b64 v[5:6], v[5:6], off offset:2048
	global_load_b64 v[3:4], v[3:4], off
	s_waitcnt vmcnt(10)
	v_add_f64 v[1:2], v[1:2], v[11:12]
	s_waitcnt vmcnt(9)
	s_delay_alu instid0(VALU_DEP_1) | instskip(SKIP_1) | instid1(VALU_DEP_1)
	v_add_f64 v[1:2], v[1:2], v[15:16]
	s_waitcnt vmcnt(8)
	v_add_f64 v[1:2], v[1:2], v[17:18]
	s_waitcnt vmcnt(7)
	s_delay_alu instid0(VALU_DEP_1) | instskip(SKIP_1) | instid1(VALU_DEP_1)
	v_add_f64 v[1:2], v[1:2], v[13:14]
	;; [unrolled: 5-line block ×3, first 2 shown]
	s_waitcnt vmcnt(3)
	v_add_f64 v[1:2], v[1:2], v[7:8]
	s_waitcnt vmcnt(0)
	s_delay_alu instid0(VALU_DEP_1) | instskip(NEXT) | instid1(VALU_DEP_1)
	v_add_f64 v[1:2], v[1:2], v[3:4]
	v_add_f64 v[1:2], v[1:2], v[5:6]
	s_delay_alu instid0(VALU_DEP_1) | instskip(NEXT) | instid1(VALU_DEP_1)
	v_add_f64 v[1:2], v[1:2], v[9:10]
	v_add_f64 v[1:2], v[1:2], v[25:26]
	s_delay_alu instid0(VALU_DEP_1) | instskip(NEXT) | instid1(VALU_DEP_2)
	v_mov_b32_dpp v3, v1 quad_perm:[1,0,3,2] row_mask:0xf bank_mask:0xf
	v_mov_b32_dpp v4, v2 quad_perm:[1,0,3,2] row_mask:0xf bank_mask:0xf
	s_delay_alu instid0(VALU_DEP_1) | instskip(NEXT) | instid1(VALU_DEP_1)
	v_add_f64 v[1:2], v[1:2], v[3:4]
	v_mov_b32_dpp v3, v1 quad_perm:[2,3,0,1] row_mask:0xf bank_mask:0xf
	s_delay_alu instid0(VALU_DEP_2) | instskip(NEXT) | instid1(VALU_DEP_1)
	v_mov_b32_dpp v4, v2 quad_perm:[2,3,0,1] row_mask:0xf bank_mask:0xf
	v_add_f64 v[1:2], v[1:2], v[3:4]
	s_delay_alu instid0(VALU_DEP_1) | instskip(NEXT) | instid1(VALU_DEP_2)
	v_mov_b32_dpp v3, v1 row_ror:4 row_mask:0xf bank_mask:0xf
	v_mov_b32_dpp v4, v2 row_ror:4 row_mask:0xf bank_mask:0xf
	s_delay_alu instid0(VALU_DEP_1) | instskip(NEXT) | instid1(VALU_DEP_1)
	v_add_f64 v[1:2], v[1:2], v[3:4]
	v_mov_b32_dpp v3, v1 row_ror:8 row_mask:0xf bank_mask:0xf
	s_delay_alu instid0(VALU_DEP_2) | instskip(NEXT) | instid1(VALU_DEP_1)
	v_mov_b32_dpp v4, v2 row_ror:8 row_mask:0xf bank_mask:0xf
	v_add_f64 v[1:2], v[1:2], v[3:4]
	ds_swizzle_b32 v3, v1 offset:swizzle(BROADCAST,32,15)
	ds_swizzle_b32 v4, v2 offset:swizzle(BROADCAST,32,15)
	s_waitcnt lgkmcnt(0)
	v_add_f64 v[1:2], v[1:2], v[3:4]
	v_mov_b32_e32 v3, 0
	ds_bpermute_b32 v1, v3, v1 offset:124
	ds_bpermute_b32 v2, v3, v2 offset:124
	v_cmpx_eq_u32_e32 0, v35
	s_cbranch_execz .LBB5_3
; %bb.2:
	v_lshrrev_b32_e32 v3, 2, v0
	s_delay_alu instid0(VALU_DEP_1)
	v_and_b32_e32 v3, 56, v3
	s_waitcnt lgkmcnt(0)
	ds_store_b64 v3, v[1:2]
.LBB5_3:
	s_or_b32 exec_lo, exec_lo, s1
	s_delay_alu instid0(SALU_CYCLE_1)
	s_mov_b32 s1, exec_lo
	s_waitcnt lgkmcnt(0)
	s_barrier
	buffer_gl0_inv
	v_cmpx_gt_u32_e32 32, v0
	s_cbranch_execz .LBB5_5
; %bb.4:
	v_and_b32_e32 v5, 7, v35
	s_delay_alu instid0(VALU_DEP_1) | instskip(SKIP_4) | instid1(VALU_DEP_2)
	v_lshlrev_b32_e32 v1, 3, v5
	v_cmp_ne_u32_e32 vcc_lo, 7, v5
	ds_load_b64 v[1:2], v1
	v_add_co_ci_u32_e32 v3, vcc_lo, 0, v35, vcc_lo
	v_cmp_gt_u32_e32 vcc_lo, 6, v5
	v_lshlrev_b32_e32 v4, 2, v3
	s_waitcnt lgkmcnt(0)
	ds_bpermute_b32 v3, v4, v1
	ds_bpermute_b32 v4, v4, v2
	s_waitcnt lgkmcnt(0)
	v_add_f64 v[1:2], v[1:2], v[3:4]
	v_cndmask_b32_e64 v3, 0, 1, vcc_lo
	v_cmp_gt_u32_e32 vcc_lo, 4, v5
	s_delay_alu instid0(VALU_DEP_2) | instskip(NEXT) | instid1(VALU_DEP_1)
	v_lshlrev_b32_e32 v3, 1, v3
	v_add_lshl_u32 v4, v3, v35, 2
	ds_bpermute_b32 v3, v4, v1
	ds_bpermute_b32 v4, v4, v2
	s_waitcnt lgkmcnt(0)
	v_add_f64 v[1:2], v[1:2], v[3:4]
	v_cndmask_b32_e64 v3, 0, 1, vcc_lo
	s_delay_alu instid0(VALU_DEP_1) | instskip(NEXT) | instid1(VALU_DEP_1)
	v_lshlrev_b32_e32 v3, 2, v3
	v_add_lshl_u32 v4, v3, v35, 2
	ds_bpermute_b32 v3, v4, v1
	ds_bpermute_b32 v4, v4, v2
	s_waitcnt lgkmcnt(0)
	v_add_f64 v[1:2], v[1:2], v[3:4]
.LBB5_5:
	s_or_b32 exec_lo, exec_lo, s1
	s_branch .LBB5_60
.LBB5_6:
                                        ; implicit-def: $vgpr1_vgpr2
	s_cbranch_execz .LBB5_60
; %bb.7:
	s_sub_i32 s15, s18, s0
	s_mov_b32 s0, exec_lo
                                        ; implicit-def: $vgpr1_vgpr2_vgpr3_vgpr4_vgpr5_vgpr6_vgpr7_vgpr8_vgpr9_vgpr10_vgpr11_vgpr12_vgpr13_vgpr14_vgpr15_vgpr16_vgpr17_vgpr18_vgpr19_vgpr20_vgpr21_vgpr22_vgpr23_vgpr24_vgpr25_vgpr26_vgpr27_vgpr28_vgpr29_vgpr30_vgpr31_vgpr32
	v_cmpx_gt_u32_e64 s15, v0
	s_cbranch_execz .LBB5_9
; %bb.8:
	global_load_b64 v[1:2], v[33:34], off
.LBB5_9:
	s_or_b32 exec_lo, exec_lo, s0
	v_or_b32_e32 v36, 0x100, v0
	s_delay_alu instid0(VALU_DEP_1)
	v_cmp_gt_u32_e32 vcc_lo, s15, v36
	s_and_saveexec_b32 s0, vcc_lo
	s_cbranch_execz .LBB5_11
; %bb.10:
	global_load_b64 v[3:4], v[33:34], off offset:2048
.LBB5_11:
	s_or_b32 exec_lo, exec_lo, s0
	v_or_b32_e32 v36, 0x200, v0
	s_delay_alu instid0(VALU_DEP_1) | instskip(NEXT) | instid1(VALU_DEP_1)
	v_cmp_gt_u32_e64 s0, s15, v36
	s_and_saveexec_b32 s2, s0
	s_cbranch_execz .LBB5_13
; %bb.12:
	v_add_co_u32 v5, s1, 0x1000, v33
	s_delay_alu instid0(VALU_DEP_1)
	v_add_co_ci_u32_e64 v6, s1, 0, v34, s1
	global_load_b64 v[5:6], v[5:6], off
.LBB5_13:
	s_or_b32 exec_lo, exec_lo, s2
	v_or_b32_e32 v36, 0x300, v0
	s_delay_alu instid0(VALU_DEP_1) | instskip(NEXT) | instid1(VALU_DEP_1)
	v_cmp_gt_u32_e64 s1, s15, v36
	s_and_saveexec_b32 s3, s1
	s_cbranch_execz .LBB5_15
; %bb.14:
	v_add_co_u32 v7, s2, 0x1000, v33
	s_delay_alu instid0(VALU_DEP_1)
	v_add_co_ci_u32_e64 v8, s2, 0, v34, s2
	global_load_b64 v[7:8], v[7:8], off offset:2048
.LBB5_15:
	s_or_b32 exec_lo, exec_lo, s3
	v_or_b32_e32 v36, 0x400, v0
	s_delay_alu instid0(VALU_DEP_1) | instskip(NEXT) | instid1(VALU_DEP_1)
	v_cmp_gt_u32_e64 s2, s15, v36
	s_and_saveexec_b32 s4, s2
	s_cbranch_execz .LBB5_17
; %bb.16:
	v_add_co_u32 v9, s3, 0x2000, v33
	s_delay_alu instid0(VALU_DEP_1)
	v_add_co_ci_u32_e64 v10, s3, 0, v34, s3
	global_load_b64 v[9:10], v[9:10], off
.LBB5_17:
	s_or_b32 exec_lo, exec_lo, s4
	v_or_b32_e32 v36, 0x500, v0
	s_delay_alu instid0(VALU_DEP_1) | instskip(NEXT) | instid1(VALU_DEP_1)
	v_cmp_gt_u32_e64 s3, s15, v36
	s_and_saveexec_b32 s5, s3
	s_cbranch_execz .LBB5_19
; %bb.18:
	v_add_co_u32 v11, s4, 0x2000, v33
	s_delay_alu instid0(VALU_DEP_1)
	v_add_co_ci_u32_e64 v12, s4, 0, v34, s4
	global_load_b64 v[11:12], v[11:12], off offset:2048
.LBB5_19:
	;; [unrolled: 24-line block ×7, first 2 shown]
	s_or_b32 exec_lo, exec_lo, s16
	s_waitcnt vmcnt(0)
	v_add_f64 v[3:4], v[1:2], v[3:4]
	s_delay_alu instid0(VALU_DEP_1) | instskip(SKIP_1) | instid1(VALU_DEP_2)
	v_dual_cndmask_b32 v2, v2, v4 :: v_dual_cndmask_b32 v1, v1, v3
	v_cmp_ne_u32_e32 vcc_lo, 31, v35
	v_add_f64 v[3:4], v[5:6], v[1:2]
	v_add_co_ci_u32_e32 v5, vcc_lo, 0, v35, vcc_lo
	v_add_nc_u32_e32 v6, 1, v35
	s_delay_alu instid0(VALU_DEP_2) | instskip(NEXT) | instid1(VALU_DEP_4)
	v_lshlrev_b32_e32 v5, 2, v5
	v_cndmask_b32_e64 v2, v2, v4, s0
	v_cndmask_b32_e64 v1, v1, v3, s0
	s_min_u32 s0, s15, 0x100
	s_delay_alu instid0(VALU_DEP_1) | instskip(NEXT) | instid1(VALU_DEP_1)
	v_add_f64 v[3:4], v[7:8], v[1:2]
	v_cndmask_b32_e64 v2, v2, v4, s1
	s_delay_alu instid0(VALU_DEP_2) | instskip(SKIP_1) | instid1(VALU_DEP_1)
	v_cndmask_b32_e64 v1, v1, v3, s1
	s_mov_b32 s1, exec_lo
	v_add_f64 v[3:4], v[9:10], v[1:2]
	s_delay_alu instid0(VALU_DEP_1) | instskip(NEXT) | instid1(VALU_DEP_2)
	v_cndmask_b32_e64 v2, v2, v4, s2
	v_cndmask_b32_e64 v1, v1, v3, s2
	s_delay_alu instid0(VALU_DEP_1) | instskip(NEXT) | instid1(VALU_DEP_1)
	v_add_f64 v[3:4], v[11:12], v[1:2]
	v_cndmask_b32_e64 v2, v2, v4, s3
	s_delay_alu instid0(VALU_DEP_2) | instskip(NEXT) | instid1(VALU_DEP_1)
	v_cndmask_b32_e64 v1, v1, v3, s3
	v_add_f64 v[3:4], v[13:14], v[1:2]
	s_delay_alu instid0(VALU_DEP_1) | instskip(NEXT) | instid1(VALU_DEP_2)
	v_cndmask_b32_e64 v2, v2, v4, s4
	v_cndmask_b32_e64 v1, v1, v3, s4
	s_delay_alu instid0(VALU_DEP_1) | instskip(NEXT) | instid1(VALU_DEP_1)
	v_add_f64 v[3:4], v[15:16], v[1:2]
	v_cndmask_b32_e64 v2, v2, v4, s5
	s_delay_alu instid0(VALU_DEP_2) | instskip(NEXT) | instid1(VALU_DEP_1)
	v_cndmask_b32_e64 v1, v1, v3, s5
	;; [unrolled: 9-line block ×5, first 2 shown]
	v_add_f64 v[3:4], v[29:30], v[1:2]
	s_delay_alu instid0(VALU_DEP_1) | instskip(NEXT) | instid1(VALU_DEP_2)
	v_cndmask_b32_e64 v2, v2, v4, s12
	v_cndmask_b32_e64 v1, v1, v3, s12
	s_delay_alu instid0(VALU_DEP_1) | instskip(NEXT) | instid1(VALU_DEP_1)
	v_add_f64 v[3:4], v[31:32], v[1:2]
	v_cndmask_b32_e64 v1, v1, v3, s13
	s_delay_alu instid0(VALU_DEP_2) | instskip(SKIP_3) | instid1(VALU_DEP_1)
	v_cndmask_b32_e64 v2, v2, v4, s13
	ds_bpermute_b32 v3, v5, v1
	ds_bpermute_b32 v4, v5, v2
	v_and_b32_e32 v5, 0xe0, v0
	v_sub_nc_u32_e64 v5, s0, v5 clamp
	s_delay_alu instid0(VALU_DEP_1)
	v_cmpx_lt_u32_e64 v6, v5
	s_cbranch_execz .LBB5_41
; %bb.40:
	s_waitcnt lgkmcnt(0)
	v_add_f64 v[1:2], v[1:2], v[3:4]
.LBB5_41:
	s_or_b32 exec_lo, exec_lo, s1
	v_cmp_gt_u32_e32 vcc_lo, 30, v35
	v_add_nc_u32_e32 v6, 2, v35
	s_mov_b32 s1, exec_lo
	s_waitcnt lgkmcnt(1)
	v_cndmask_b32_e64 v3, 0, 1, vcc_lo
	s_delay_alu instid0(VALU_DEP_1) | instskip(SKIP_1) | instid1(VALU_DEP_1)
	v_lshlrev_b32_e32 v3, 1, v3
	s_waitcnt lgkmcnt(0)
	v_add_lshl_u32 v4, v3, v35, 2
	ds_bpermute_b32 v3, v4, v1
	ds_bpermute_b32 v4, v4, v2
	v_cmpx_lt_u32_e64 v6, v5
	s_cbranch_execz .LBB5_43
; %bb.42:
	s_waitcnt lgkmcnt(0)
	v_add_f64 v[1:2], v[1:2], v[3:4]
.LBB5_43:
	s_or_b32 exec_lo, exec_lo, s1
	v_cmp_gt_u32_e32 vcc_lo, 28, v35
	v_add_nc_u32_e32 v6, 4, v35
	s_mov_b32 s1, exec_lo
	s_waitcnt lgkmcnt(1)
	v_cndmask_b32_e64 v3, 0, 1, vcc_lo
	s_delay_alu instid0(VALU_DEP_1) | instskip(SKIP_1) | instid1(VALU_DEP_1)
	v_lshlrev_b32_e32 v3, 2, v3
	s_waitcnt lgkmcnt(0)
	v_add_lshl_u32 v4, v3, v35, 2
	ds_bpermute_b32 v3, v4, v1
	ds_bpermute_b32 v4, v4, v2
	;; [unrolled: 18-line block ×4, first 2 shown]
	v_cmpx_lt_u32_e64 v6, v5
	s_cbranch_execz .LBB5_49
; %bb.48:
	s_waitcnt lgkmcnt(0)
	v_add_f64 v[1:2], v[1:2], v[3:4]
.LBB5_49:
	s_or_b32 exec_lo, exec_lo, s1
	s_delay_alu instid0(SALU_CYCLE_1)
	s_mov_b32 s1, exec_lo
	v_cmpx_eq_u32_e32 0, v35
	s_cbranch_execz .LBB5_51
; %bb.50:
	s_waitcnt lgkmcnt(1)
	v_lshrrev_b32_e32 v3, 2, v0
	s_delay_alu instid0(VALU_DEP_1)
	v_and_b32_e32 v3, 56, v3
	ds_store_b64 v3, v[1:2] offset:64
.LBB5_51:
	s_or_b32 exec_lo, exec_lo, s1
	s_delay_alu instid0(SALU_CYCLE_1)
	s_mov_b32 s1, exec_lo
	s_waitcnt lgkmcnt(0)
	s_barrier
	buffer_gl0_inv
	v_cmpx_gt_u32_e32 8, v0
	s_cbranch_execz .LBB5_59
; %bb.52:
	v_lshlrev_b32_e32 v1, 3, v35
	v_and_b32_e32 v5, 7, v35
	s_add_i32 s0, s0, 31
	s_mov_b32 s2, exec_lo
	s_lshr_b32 s0, s0, 5
	ds_load_b64 v[1:2], v1 offset:64
	v_cmp_ne_u32_e32 vcc_lo, 7, v5
	v_add_nc_u32_e32 v6, 1, v5
	v_add_co_ci_u32_e32 v3, vcc_lo, 0, v35, vcc_lo
	s_delay_alu instid0(VALU_DEP_1)
	v_lshlrev_b32_e32 v4, 2, v3
	s_waitcnt lgkmcnt(0)
	ds_bpermute_b32 v3, v4, v1
	ds_bpermute_b32 v4, v4, v2
	v_cmpx_gt_u32_e64 s0, v6
	s_cbranch_execz .LBB5_54
; %bb.53:
	s_waitcnt lgkmcnt(0)
	v_add_f64 v[1:2], v[1:2], v[3:4]
.LBB5_54:
	s_or_b32 exec_lo, exec_lo, s2
	v_cmp_gt_u32_e32 vcc_lo, 6, v5
	v_add_nc_u32_e32 v6, 2, v5
	s_mov_b32 s2, exec_lo
	s_waitcnt lgkmcnt(1)
	v_cndmask_b32_e64 v3, 0, 1, vcc_lo
	s_delay_alu instid0(VALU_DEP_1) | instskip(SKIP_1) | instid1(VALU_DEP_1)
	v_lshlrev_b32_e32 v3, 1, v3
	s_waitcnt lgkmcnt(0)
	v_add_lshl_u32 v4, v3, v35, 2
	ds_bpermute_b32 v3, v4, v1
	ds_bpermute_b32 v4, v4, v2
	v_cmpx_gt_u32_e64 s0, v6
	s_cbranch_execz .LBB5_56
; %bb.55:
	s_waitcnt lgkmcnt(0)
	v_add_f64 v[1:2], v[1:2], v[3:4]
.LBB5_56:
	s_or_b32 exec_lo, exec_lo, s2
	v_cmp_gt_u32_e32 vcc_lo, 4, v5
	v_add_nc_u32_e32 v5, 4, v5
	s_waitcnt lgkmcnt(1)
	v_cndmask_b32_e64 v3, 0, 1, vcc_lo
	s_delay_alu instid0(VALU_DEP_2) | instskip(NEXT) | instid1(VALU_DEP_2)
	v_cmp_gt_u32_e32 vcc_lo, s0, v5
	v_lshlrev_b32_e32 v3, 2, v3
	s_waitcnt lgkmcnt(0)
	s_delay_alu instid0(VALU_DEP_1)
	v_add_lshl_u32 v4, v3, v35, 2
	ds_bpermute_b32 v3, v4, v1
	ds_bpermute_b32 v4, v4, v2
	s_and_saveexec_b32 s0, vcc_lo
	s_cbranch_execz .LBB5_58
; %bb.57:
	s_waitcnt lgkmcnt(0)
	v_add_f64 v[1:2], v[1:2], v[3:4]
.LBB5_58:
	s_or_b32 exec_lo, exec_lo, s0
.LBB5_59:
	s_delay_alu instid0(SALU_CYCLE_1)
	s_or_b32 exec_lo, exec_lo, s1
.LBB5_60:
	s_delay_alu instid0(SALU_CYCLE_1)
	s_mov_b32 s0, exec_lo
	v_cmpx_eq_u32_e32 0, v0
	s_cbranch_execz .LBB5_62
; %bb.61:
	s_delay_alu instid0(VALU_DEP_2)
	v_add_f64 v[0:1], v[1:2], s[22:23]
	s_lshl_b64 s[0:1], s[24:25], 3
	v_mov_b32_e32 v2, 0
	s_add_u32 s0, s20, s0
	s_addc_u32 s1, s21, s1
	s_cmp_eq_u64 s[18:19], 0
	s_cselect_b32 s2, -1, 0
	s_delay_alu instid0(VALU_DEP_2) | instid1(SALU_CYCLE_1)
	v_cndmask_b32_e64 v1, v1, s23, s2
	s_delay_alu instid0(VALU_DEP_3)
	v_cndmask_b32_e64 v0, v0, s22, s2
	global_store_b64 v2, v[0:1], s[0:1]
.LBB5_62:
	s_nop 0
	s_sendmsg sendmsg(MSG_DEALLOC_VGPRS)
	s_endpgm
	.section	.rodata,"a",@progbits
	.p2align	6, 0x0
	.amdhsa_kernel _ZN7rocprim6detail19block_reduce_kernelILb1ELb1ELj4ENS0_21wrapped_reduce_configINS_14default_configEdEEdPdS5_dN6thrust4plusIdEEEEvT4_mT5_T6_T7_
		.amdhsa_group_segment_fixed_size 128
		.amdhsa_private_segment_fixed_size 0
		.amdhsa_kernarg_size 36
		.amdhsa_user_sgpr_count 15
		.amdhsa_user_sgpr_dispatch_ptr 0
		.amdhsa_user_sgpr_queue_ptr 0
		.amdhsa_user_sgpr_kernarg_segment_ptr 1
		.amdhsa_user_sgpr_dispatch_id 0
		.amdhsa_user_sgpr_private_segment_size 0
		.amdhsa_wavefront_size32 1
		.amdhsa_uses_dynamic_stack 0
		.amdhsa_enable_private_segment 0
		.amdhsa_system_sgpr_workgroup_id_x 1
		.amdhsa_system_sgpr_workgroup_id_y 0
		.amdhsa_system_sgpr_workgroup_id_z 0
		.amdhsa_system_sgpr_workgroup_info 0
		.amdhsa_system_vgpr_workitem_id 0
		.amdhsa_next_free_vgpr 37
		.amdhsa_next_free_sgpr 26
		.amdhsa_reserve_vcc 1
		.amdhsa_float_round_mode_32 0
		.amdhsa_float_round_mode_16_64 0
		.amdhsa_float_denorm_mode_32 3
		.amdhsa_float_denorm_mode_16_64 3
		.amdhsa_dx10_clamp 1
		.amdhsa_ieee_mode 1
		.amdhsa_fp16_overflow 0
		.amdhsa_workgroup_processor_mode 1
		.amdhsa_memory_ordered 1
		.amdhsa_forward_progress 0
		.amdhsa_shared_vgpr_count 0
		.amdhsa_exception_fp_ieee_invalid_op 0
		.amdhsa_exception_fp_denorm_src 0
		.amdhsa_exception_fp_ieee_div_zero 0
		.amdhsa_exception_fp_ieee_overflow 0
		.amdhsa_exception_fp_ieee_underflow 0
		.amdhsa_exception_fp_ieee_inexact 0
		.amdhsa_exception_int_div_zero 0
	.end_amdhsa_kernel
	.section	.text._ZN7rocprim6detail19block_reduce_kernelILb1ELb1ELj4ENS0_21wrapped_reduce_configINS_14default_configEdEEdPdS5_dN6thrust4plusIdEEEEvT4_mT5_T6_T7_,"axG",@progbits,_ZN7rocprim6detail19block_reduce_kernelILb1ELb1ELj4ENS0_21wrapped_reduce_configINS_14default_configEdEEdPdS5_dN6thrust4plusIdEEEEvT4_mT5_T6_T7_,comdat
.Lfunc_end5:
	.size	_ZN7rocprim6detail19block_reduce_kernelILb1ELb1ELj4ENS0_21wrapped_reduce_configINS_14default_configEdEEdPdS5_dN6thrust4plusIdEEEEvT4_mT5_T6_T7_, .Lfunc_end5-_ZN7rocprim6detail19block_reduce_kernelILb1ELb1ELj4ENS0_21wrapped_reduce_configINS_14default_configEdEEdPdS5_dN6thrust4plusIdEEEEvT4_mT5_T6_T7_
                                        ; -- End function
	.section	.AMDGPU.csdata,"",@progbits
; Kernel info:
; codeLenInByte = 3312
; NumSgprs: 28
; NumVgprs: 37
; ScratchSize: 0
; MemoryBound: 1
; FloatMode: 240
; IeeeMode: 1
; LDSByteSize: 128 bytes/workgroup (compile time only)
; SGPRBlocks: 3
; VGPRBlocks: 4
; NumSGPRsForWavesPerEU: 28
; NumVGPRsForWavesPerEU: 37
; Occupancy: 16
; WaveLimiterHint : 1
; COMPUTE_PGM_RSRC2:SCRATCH_EN: 0
; COMPUTE_PGM_RSRC2:USER_SGPR: 15
; COMPUTE_PGM_RSRC2:TRAP_HANDLER: 0
; COMPUTE_PGM_RSRC2:TGID_X_EN: 1
; COMPUTE_PGM_RSRC2:TGID_Y_EN: 0
; COMPUTE_PGM_RSRC2:TGID_Z_EN: 0
; COMPUTE_PGM_RSRC2:TIDIG_COMP_CNT: 0
	.section	.text._ZN7rocprim6detail19block_reduce_kernelILb1ELb1ELj8ENS0_21wrapped_reduce_configINS_14default_configEdEEdPdS5_dN6thrust4plusIdEEEEvT4_mT5_T6_T7_,"axG",@progbits,_ZN7rocprim6detail19block_reduce_kernelILb1ELb1ELj8ENS0_21wrapped_reduce_configINS_14default_configEdEEdPdS5_dN6thrust4plusIdEEEEvT4_mT5_T6_T7_,comdat
	.protected	_ZN7rocprim6detail19block_reduce_kernelILb1ELb1ELj8ENS0_21wrapped_reduce_configINS_14default_configEdEEdPdS5_dN6thrust4plusIdEEEEvT4_mT5_T6_T7_ ; -- Begin function _ZN7rocprim6detail19block_reduce_kernelILb1ELb1ELj8ENS0_21wrapped_reduce_configINS_14default_configEdEEdPdS5_dN6thrust4plusIdEEEEvT4_mT5_T6_T7_
	.globl	_ZN7rocprim6detail19block_reduce_kernelILb1ELb1ELj8ENS0_21wrapped_reduce_configINS_14default_configEdEEdPdS5_dN6thrust4plusIdEEEEvT4_mT5_T6_T7_
	.p2align	8
	.type	_ZN7rocprim6detail19block_reduce_kernelILb1ELb1ELj8ENS0_21wrapped_reduce_configINS_14default_configEdEEdPdS5_dN6thrust4plusIdEEEEvT4_mT5_T6_T7_,@function
_ZN7rocprim6detail19block_reduce_kernelILb1ELb1ELj8ENS0_21wrapped_reduce_configINS_14default_configEdEEdPdS5_dN6thrust4plusIdEEEEvT4_mT5_T6_T7_: ; @_ZN7rocprim6detail19block_reduce_kernelILb1ELb1ELj8ENS0_21wrapped_reduce_configINS_14default_configEdEEdPdS5_dN6thrust4plusIdEEEEvT4_mT5_T6_T7_
; %bb.0:
	s_load_b256 s[36:43], s[0:1], 0x0
	s_mov_b32 s1, 0
	s_lshl_b32 s0, s15, 13
	v_lshlrev_b32_e32 v1, 3, v0
	s_lshl_b64 s[2:3], s[0:1], 3
	s_mov_b32 s35, s1
	v_mbcnt_lo_u32_b32 v67, -1, 0
	s_mov_b32 s34, s15
	s_waitcnt lgkmcnt(0)
	s_lshr_b64 s[4:5], s[38:39], 13
	s_add_u32 s1, s36, s2
	s_addc_u32 s2, s37, s3
	v_add_co_u32 v1, s1, s1, v1
	s_delay_alu instid0(VALU_DEP_1)
	v_add_co_ci_u32_e64 v2, null, s2, 0, s1
	s_cmp_lg_u64 s[4:5], s[34:35]
	s_cbranch_scc0 .LBB6_6
; %bb.1:
	s_clause 0x1
	global_load_b64 v[3:4], v[1:2], off
	global_load_b64 v[5:6], v[1:2], off offset:2048
	v_add_co_u32 v7, vcc_lo, v1, 0x2000
	v_add_co_ci_u32_e32 v8, vcc_lo, 0, v2, vcc_lo
	v_add_co_u32 v11, vcc_lo, 0x1000, v1
	v_add_co_ci_u32_e32 v12, vcc_lo, 0, v2, vcc_lo
	s_clause 0x2
	global_load_b64 v[9:10], v[7:8], off offset:-4096
	global_load_b64 v[11:12], v[11:12], off offset:2048
	global_load_b64 v[7:8], v[7:8], off
	v_add_co_u32 v13, vcc_lo, 0x2000, v1
	v_add_co_ci_u32_e32 v14, vcc_lo, 0, v2, vcc_lo
	v_add_co_u32 v15, vcc_lo, v1, 0x4000
	v_add_co_ci_u32_e32 v16, vcc_lo, 0, v2, vcc_lo
	global_load_b64 v[13:14], v[13:14], off offset:2048
	v_add_co_u32 v19, vcc_lo, 0x3000, v1
	global_load_b64 v[17:18], v[15:16], off offset:-4096
	v_add_co_ci_u32_e32 v20, vcc_lo, 0, v2, vcc_lo
	s_clause 0x1
	global_load_b64 v[19:20], v[19:20], off offset:2048
	global_load_b64 v[15:16], v[15:16], off
	v_add_co_u32 v21, vcc_lo, 0x4000, v1
	v_add_co_ci_u32_e32 v22, vcc_lo, 0, v2, vcc_lo
	s_mov_b32 s1, exec_lo
	global_load_b64 v[21:22], v[21:22], off offset:2048
	s_waitcnt vmcnt(8)
	v_add_f64 v[3:4], v[3:4], v[5:6]
	v_add_co_u32 v5, vcc_lo, v1, 0x6000
	v_add_co_ci_u32_e32 v6, vcc_lo, 0, v2, vcc_lo
	v_add_co_u32 v25, vcc_lo, 0xf000, v1
	v_add_co_ci_u32_e32 v26, vcc_lo, 0, v2, vcc_lo
	s_clause 0x1
	global_load_b64 v[23:24], v[5:6], off offset:-4096
	global_load_b64 v[27:28], v[25:26], off offset:2048
	s_waitcnt vmcnt(9)
	v_add_f64 v[3:4], v[3:4], v[9:10]
	v_add_co_u32 v9, vcc_lo, 0x5000, v1
	v_add_co_ci_u32_e32 v10, vcc_lo, 0, v2, vcc_lo
	global_load_b64 v[9:10], v[9:10], off offset:2048
	s_waitcnt vmcnt(9)
	v_add_f64 v[3:4], v[3:4], v[11:12]
	s_waitcnt vmcnt(8)
	s_delay_alu instid0(VALU_DEP_1)
	v_add_f64 v[3:4], v[3:4], v[7:8]
	v_add_co_u32 v7, vcc_lo, 0x6000, v1
	v_add_co_ci_u32_e32 v8, vcc_lo, 0, v2, vcc_lo
	v_add_co_u32 v11, vcc_lo, v1, 0x8000
	v_add_co_ci_u32_e32 v12, vcc_lo, 0, v2, vcc_lo
	global_load_b64 v[7:8], v[7:8], off offset:2048
	s_waitcnt vmcnt(8)
	v_add_f64 v[3:4], v[3:4], v[13:14]
	global_load_b64 v[13:14], v[11:12], off offset:-4096
	s_waitcnt vmcnt(8)
	v_add_f64 v[3:4], v[3:4], v[17:18]
	v_add_co_u32 v17, vcc_lo, 0x7000, v1
	v_add_co_ci_u32_e32 v18, vcc_lo, 0, v2, vcc_lo
	global_load_b64 v[17:18], v[17:18], off offset:2048
	s_waitcnt vmcnt(8)
	v_add_f64 v[3:4], v[3:4], v[19:20]
	s_waitcnt vmcnt(7)
	s_delay_alu instid0(VALU_DEP_1)
	v_add_f64 v[3:4], v[3:4], v[15:16]
	v_add_co_u32 v15, vcc_lo, 0x8000, v1
	v_add_co_ci_u32_e32 v16, vcc_lo, 0, v2, vcc_lo
	v_add_co_u32 v19, vcc_lo, v1, 0xa000
	v_add_co_ci_u32_e32 v20, vcc_lo, 0, v2, vcc_lo
	s_clause 0x2
	global_load_b64 v[15:16], v[15:16], off offset:2048
	global_load_b64 v[11:12], v[11:12], off
	global_load_b64 v[5:6], v[5:6], off
	s_waitcnt vmcnt(9)
	v_add_f64 v[3:4], v[3:4], v[21:22]
	global_load_b64 v[21:22], v[19:20], off offset:-4096
	s_waitcnt vmcnt(9)
	v_add_f64 v[3:4], v[3:4], v[23:24]
	v_add_co_u32 v23, vcc_lo, 0x9000, v1
	v_add_co_ci_u32_e32 v24, vcc_lo, 0, v2, vcc_lo
	global_load_b64 v[23:24], v[23:24], off offset:2048
	s_waitcnt vmcnt(8)
	v_add_f64 v[3:4], v[3:4], v[9:10]
	global_load_b64 v[9:10], v[19:20], off
	s_waitcnt vmcnt(3)
	v_add_f64 v[3:4], v[3:4], v[5:6]
	v_add_co_u32 v5, vcc_lo, 0xa000, v1
	v_add_co_ci_u32_e32 v6, vcc_lo, 0, v2, vcc_lo
	global_load_b64 v[5:6], v[5:6], off offset:2048
	v_add_f64 v[3:4], v[3:4], v[7:8]
	v_add_co_u32 v7, vcc_lo, v1, 0xc000
	v_add_co_ci_u32_e32 v8, vcc_lo, 0, v2, vcc_lo
	global_load_b64 v[19:20], v[7:8], off offset:-4096
	v_add_f64 v[3:4], v[3:4], v[13:14]
	v_add_co_u32 v13, vcc_lo, 0xb000, v1
	v_add_co_ci_u32_e32 v14, vcc_lo, 0, v2, vcc_lo
	global_load_b64 v[13:14], v[13:14], off offset:2048
	v_add_f64 v[3:4], v[3:4], v[17:18]
	s_delay_alu instid0(VALU_DEP_1)
	v_add_f64 v[3:4], v[3:4], v[11:12]
	v_add_co_u32 v11, vcc_lo, 0xc000, v1
	v_add_co_ci_u32_e32 v12, vcc_lo, 0, v2, vcc_lo
	global_load_b64 v[11:12], v[11:12], off offset:2048
	v_add_f64 v[3:4], v[3:4], v[15:16]
	v_add_co_u32 v15, vcc_lo, v1, 0xe000
	v_add_co_ci_u32_e32 v16, vcc_lo, 0, v2, vcc_lo
	global_load_b64 v[17:18], v[15:16], off offset:-4096
	s_waitcnt vmcnt(7)
	v_add_f64 v[3:4], v[3:4], v[21:22]
	v_add_co_u32 v21, vcc_lo, 0xd000, v1
	v_add_co_ci_u32_e32 v22, vcc_lo, 0, v2, vcc_lo
	s_clause 0x1
	global_load_b64 v[21:22], v[21:22], off offset:2048
	global_load_b64 v[15:16], v[15:16], off
	s_waitcnt vmcnt(8)
	v_add_f64 v[3:4], v[3:4], v[23:24]
	s_waitcnt vmcnt(7)
	s_delay_alu instid0(VALU_DEP_1)
	v_add_f64 v[3:4], v[3:4], v[9:10]
	v_add_co_u32 v9, vcc_lo, 0xe000, v1
	v_add_co_ci_u32_e32 v10, vcc_lo, 0, v2, vcc_lo
	s_clause 0x1
	global_load_b64 v[9:10], v[9:10], off offset:2048
	global_load_b64 v[7:8], v[7:8], off
	s_waitcnt vmcnt(8)
	v_add_f64 v[3:4], v[3:4], v[5:6]
	global_load_b64 v[5:6], v[25:26], off
	s_waitcnt vmcnt(8)
	v_add_f64 v[3:4], v[3:4], v[19:20]
	s_waitcnt vmcnt(7)
	s_delay_alu instid0(VALU_DEP_1) | instskip(SKIP_1) | instid1(VALU_DEP_1)
	v_add_f64 v[3:4], v[3:4], v[13:14]
	s_waitcnt vmcnt(1)
	v_add_f64 v[3:4], v[3:4], v[7:8]
	s_delay_alu instid0(VALU_DEP_1) | instskip(NEXT) | instid1(VALU_DEP_1)
	v_add_f64 v[3:4], v[3:4], v[11:12]
	v_add_f64 v[3:4], v[3:4], v[17:18]
	s_delay_alu instid0(VALU_DEP_1) | instskip(NEXT) | instid1(VALU_DEP_1)
	v_add_f64 v[3:4], v[3:4], v[21:22]
	v_add_f64 v[3:4], v[3:4], v[15:16]
	s_delay_alu instid0(VALU_DEP_1) | instskip(SKIP_1) | instid1(VALU_DEP_1)
	v_add_f64 v[3:4], v[3:4], v[9:10]
	s_waitcnt vmcnt(0)
	v_add_f64 v[3:4], v[3:4], v[5:6]
	s_delay_alu instid0(VALU_DEP_1) | instskip(NEXT) | instid1(VALU_DEP_1)
	v_add_f64 v[3:4], v[3:4], v[27:28]
	v_mov_b32_dpp v5, v3 quad_perm:[1,0,3,2] row_mask:0xf bank_mask:0xf
	s_delay_alu instid0(VALU_DEP_2) | instskip(NEXT) | instid1(VALU_DEP_1)
	v_mov_b32_dpp v6, v4 quad_perm:[1,0,3,2] row_mask:0xf bank_mask:0xf
	v_add_f64 v[3:4], v[3:4], v[5:6]
	s_delay_alu instid0(VALU_DEP_1) | instskip(NEXT) | instid1(VALU_DEP_2)
	v_mov_b32_dpp v5, v3 quad_perm:[2,3,0,1] row_mask:0xf bank_mask:0xf
	v_mov_b32_dpp v6, v4 quad_perm:[2,3,0,1] row_mask:0xf bank_mask:0xf
	s_delay_alu instid0(VALU_DEP_1) | instskip(NEXT) | instid1(VALU_DEP_1)
	v_add_f64 v[3:4], v[3:4], v[5:6]
	v_mov_b32_dpp v5, v3 row_ror:4 row_mask:0xf bank_mask:0xf
	s_delay_alu instid0(VALU_DEP_2) | instskip(NEXT) | instid1(VALU_DEP_1)
	v_mov_b32_dpp v6, v4 row_ror:4 row_mask:0xf bank_mask:0xf
	v_add_f64 v[3:4], v[3:4], v[5:6]
	s_delay_alu instid0(VALU_DEP_1) | instskip(NEXT) | instid1(VALU_DEP_2)
	v_mov_b32_dpp v5, v3 row_ror:8 row_mask:0xf bank_mask:0xf
	v_mov_b32_dpp v6, v4 row_ror:8 row_mask:0xf bank_mask:0xf
	s_delay_alu instid0(VALU_DEP_1)
	v_add_f64 v[3:4], v[3:4], v[5:6]
	ds_swizzle_b32 v5, v3 offset:swizzle(BROADCAST,32,15)
	ds_swizzle_b32 v6, v4 offset:swizzle(BROADCAST,32,15)
	s_waitcnt lgkmcnt(0)
	v_add_f64 v[3:4], v[3:4], v[5:6]
	v_mov_b32_e32 v5, 0
	ds_bpermute_b32 v3, v5, v3 offset:124
	ds_bpermute_b32 v4, v5, v4 offset:124
	v_cmpx_eq_u32_e32 0, v67
	s_cbranch_execz .LBB6_3
; %bb.2:
	v_lshrrev_b32_e32 v5, 2, v0
	s_delay_alu instid0(VALU_DEP_1)
	v_and_b32_e32 v5, 56, v5
	s_waitcnt lgkmcnt(0)
	ds_store_b64 v5, v[3:4]
.LBB6_3:
	s_or_b32 exec_lo, exec_lo, s1
	s_delay_alu instid0(SALU_CYCLE_1)
	s_mov_b32 s1, exec_lo
	s_waitcnt lgkmcnt(0)
	s_barrier
	buffer_gl0_inv
	v_cmpx_gt_u32_e32 32, v0
	s_cbranch_execz .LBB6_5
; %bb.4:
	v_and_b32_e32 v7, 7, v67
	s_delay_alu instid0(VALU_DEP_1) | instskip(SKIP_4) | instid1(VALU_DEP_2)
	v_lshlrev_b32_e32 v3, 3, v7
	v_cmp_ne_u32_e32 vcc_lo, 7, v7
	ds_load_b64 v[3:4], v3
	v_add_co_ci_u32_e32 v5, vcc_lo, 0, v67, vcc_lo
	v_cmp_gt_u32_e32 vcc_lo, 6, v7
	v_lshlrev_b32_e32 v6, 2, v5
	s_waitcnt lgkmcnt(0)
	ds_bpermute_b32 v5, v6, v3
	ds_bpermute_b32 v6, v6, v4
	s_waitcnt lgkmcnt(0)
	v_add_f64 v[3:4], v[3:4], v[5:6]
	v_cndmask_b32_e64 v5, 0, 1, vcc_lo
	v_cmp_gt_u32_e32 vcc_lo, 4, v7
	s_delay_alu instid0(VALU_DEP_2) | instskip(NEXT) | instid1(VALU_DEP_1)
	v_lshlrev_b32_e32 v5, 1, v5
	v_add_lshl_u32 v6, v5, v67, 2
	ds_bpermute_b32 v5, v6, v3
	ds_bpermute_b32 v6, v6, v4
	s_waitcnt lgkmcnt(0)
	v_add_f64 v[3:4], v[3:4], v[5:6]
	v_cndmask_b32_e64 v5, 0, 1, vcc_lo
	s_delay_alu instid0(VALU_DEP_1) | instskip(NEXT) | instid1(VALU_DEP_1)
	v_lshlrev_b32_e32 v5, 2, v5
	v_add_lshl_u32 v6, v5, v67, 2
	ds_bpermute_b32 v5, v6, v3
	ds_bpermute_b32 v6, v6, v4
	s_waitcnt lgkmcnt(0)
	v_add_f64 v[3:4], v[3:4], v[5:6]
.LBB6_5:
	s_or_b32 exec_lo, exec_lo, s1
	s_branch .LBB6_92
.LBB6_6:
                                        ; implicit-def: $vgpr3_vgpr4
	s_cbranch_execz .LBB6_92
; %bb.7:
	s_sub_i32 s31, s38, s0
	s_mov_b32 s0, exec_lo
                                        ; implicit-def: $vgpr3_vgpr4
	v_cmpx_gt_u32_e64 s31, v0
	s_cbranch_execz .LBB6_9
; %bb.8:
	global_load_b64 v[3:4], v[1:2], off
.LBB6_9:
	s_or_b32 exec_lo, exec_lo, s0
	v_or_b32_e32 v5, 0x100, v0
	s_delay_alu instid0(VALU_DEP_1)
	v_cmp_gt_u32_e32 vcc_lo, s31, v5
                                        ; implicit-def: $vgpr5_vgpr6
	s_and_saveexec_b32 s0, vcc_lo
	s_cbranch_execz .LBB6_11
; %bb.10:
	global_load_b64 v[5:6], v[1:2], off offset:2048
.LBB6_11:
	s_or_b32 exec_lo, exec_lo, s0
	v_or_b32_e32 v7, 0x200, v0
	s_delay_alu instid0(VALU_DEP_1) | instskip(NEXT) | instid1(VALU_DEP_1)
	v_cmp_gt_u32_e64 s0, s31, v7
                                        ; implicit-def: $vgpr7_vgpr8
	s_and_saveexec_b32 s2, s0
	s_cbranch_execz .LBB6_13
; %bb.12:
	v_add_co_u32 v7, s1, 0x1000, v1
	s_delay_alu instid0(VALU_DEP_1)
	v_add_co_ci_u32_e64 v8, s1, 0, v2, s1
	global_load_b64 v[7:8], v[7:8], off
.LBB6_13:
	s_or_b32 exec_lo, exec_lo, s2
	v_or_b32_e32 v9, 0x300, v0
	s_delay_alu instid0(VALU_DEP_1) | instskip(NEXT) | instid1(VALU_DEP_1)
	v_cmp_gt_u32_e64 s1, s31, v9
                                        ; implicit-def: $vgpr9_vgpr10
	s_and_saveexec_b32 s3, s1
	s_cbranch_execz .LBB6_15
; %bb.14:
	v_add_co_u32 v9, s2, 0x1000, v1
	s_delay_alu instid0(VALU_DEP_1)
	v_add_co_ci_u32_e64 v10, s2, 0, v2, s2
	global_load_b64 v[9:10], v[9:10], off offset:2048
.LBB6_15:
	s_or_b32 exec_lo, exec_lo, s3
	v_or_b32_e32 v11, 0x400, v0
	s_delay_alu instid0(VALU_DEP_1) | instskip(NEXT) | instid1(VALU_DEP_1)
	v_cmp_gt_u32_e64 s2, s31, v11
                                        ; implicit-def: $vgpr11_vgpr12
	s_and_saveexec_b32 s4, s2
	s_cbranch_execz .LBB6_17
; %bb.16:
	v_add_co_u32 v11, s3, 0x2000, v1
	s_delay_alu instid0(VALU_DEP_1)
	v_add_co_ci_u32_e64 v12, s3, 0, v2, s3
	global_load_b64 v[11:12], v[11:12], off
.LBB6_17:
	s_or_b32 exec_lo, exec_lo, s4
	v_or_b32_e32 v13, 0x500, v0
	s_delay_alu instid0(VALU_DEP_1) | instskip(NEXT) | instid1(VALU_DEP_1)
	v_cmp_gt_u32_e64 s3, s31, v13
                                        ; implicit-def: $vgpr13_vgpr14
	s_and_saveexec_b32 s5, s3
	s_cbranch_execz .LBB6_19
; %bb.18:
	v_add_co_u32 v13, s4, 0x2000, v1
	s_delay_alu instid0(VALU_DEP_1)
	v_add_co_ci_u32_e64 v14, s4, 0, v2, s4
	global_load_b64 v[13:14], v[13:14], off offset:2048
.LBB6_19:
	s_or_b32 exec_lo, exec_lo, s5
	v_or_b32_e32 v15, 0x600, v0
	s_delay_alu instid0(VALU_DEP_1) | instskip(NEXT) | instid1(VALU_DEP_1)
	v_cmp_gt_u32_e64 s4, s31, v15
                                        ; implicit-def: $vgpr15_vgpr16
	s_and_saveexec_b32 s6, s4
	s_cbranch_execz .LBB6_21
; %bb.20:
	v_add_co_u32 v15, s5, 0x3000, v1
	s_delay_alu instid0(VALU_DEP_1)
	v_add_co_ci_u32_e64 v16, s5, 0, v2, s5
	global_load_b64 v[15:16], v[15:16], off
.LBB6_21:
	s_or_b32 exec_lo, exec_lo, s6
	v_or_b32_e32 v17, 0x700, v0
	s_delay_alu instid0(VALU_DEP_1) | instskip(NEXT) | instid1(VALU_DEP_1)
	v_cmp_gt_u32_e64 s5, s31, v17
                                        ; implicit-def: $vgpr17_vgpr18
	s_and_saveexec_b32 s7, s5
	s_cbranch_execz .LBB6_23
; %bb.22:
	v_add_co_u32 v17, s6, 0x3000, v1
	s_delay_alu instid0(VALU_DEP_1)
	v_add_co_ci_u32_e64 v18, s6, 0, v2, s6
	global_load_b64 v[17:18], v[17:18], off offset:2048
.LBB6_23:
	s_or_b32 exec_lo, exec_lo, s7
	v_or_b32_e32 v19, 0x800, v0
	s_delay_alu instid0(VALU_DEP_1) | instskip(NEXT) | instid1(VALU_DEP_1)
	v_cmp_gt_u32_e64 s6, s31, v19
                                        ; implicit-def: $vgpr19_vgpr20
	s_and_saveexec_b32 s8, s6
	s_cbranch_execz .LBB6_25
; %bb.24:
	v_add_co_u32 v19, s7, 0x4000, v1
	s_delay_alu instid0(VALU_DEP_1)
	v_add_co_ci_u32_e64 v20, s7, 0, v2, s7
	global_load_b64 v[19:20], v[19:20], off
.LBB6_25:
	s_or_b32 exec_lo, exec_lo, s8
	v_or_b32_e32 v21, 0x900, v0
	s_delay_alu instid0(VALU_DEP_1) | instskip(NEXT) | instid1(VALU_DEP_1)
	v_cmp_gt_u32_e64 s7, s31, v21
                                        ; implicit-def: $vgpr21_vgpr22
	s_and_saveexec_b32 s9, s7
	s_cbranch_execz .LBB6_27
; %bb.26:
	v_add_co_u32 v21, s8, 0x4000, v1
	s_delay_alu instid0(VALU_DEP_1)
	v_add_co_ci_u32_e64 v22, s8, 0, v2, s8
	global_load_b64 v[21:22], v[21:22], off offset:2048
.LBB6_27:
	s_or_b32 exec_lo, exec_lo, s9
	v_or_b32_e32 v23, 0xa00, v0
	s_delay_alu instid0(VALU_DEP_1) | instskip(NEXT) | instid1(VALU_DEP_1)
	v_cmp_gt_u32_e64 s8, s31, v23
                                        ; implicit-def: $vgpr23_vgpr24
	s_and_saveexec_b32 s10, s8
	s_cbranch_execz .LBB6_29
; %bb.28:
	v_add_co_u32 v23, s9, 0x5000, v1
	s_delay_alu instid0(VALU_DEP_1)
	v_add_co_ci_u32_e64 v24, s9, 0, v2, s9
	global_load_b64 v[23:24], v[23:24], off
.LBB6_29:
	s_or_b32 exec_lo, exec_lo, s10
	v_or_b32_e32 v25, 0xb00, v0
	s_delay_alu instid0(VALU_DEP_1) | instskip(NEXT) | instid1(VALU_DEP_1)
	v_cmp_gt_u32_e64 s9, s31, v25
                                        ; implicit-def: $vgpr25_vgpr26
	s_and_saveexec_b32 s11, s9
	s_cbranch_execz .LBB6_31
; %bb.30:
	v_add_co_u32 v25, s10, 0x5000, v1
	s_delay_alu instid0(VALU_DEP_1)
	v_add_co_ci_u32_e64 v26, s10, 0, v2, s10
	global_load_b64 v[25:26], v[25:26], off offset:2048
.LBB6_31:
	s_or_b32 exec_lo, exec_lo, s11
	v_or_b32_e32 v27, 0xc00, v0
	s_delay_alu instid0(VALU_DEP_1) | instskip(NEXT) | instid1(VALU_DEP_1)
	v_cmp_gt_u32_e64 s10, s31, v27
                                        ; implicit-def: $vgpr27_vgpr28
	s_and_saveexec_b32 s12, s10
	s_cbranch_execz .LBB6_33
; %bb.32:
	v_add_co_u32 v27, s11, 0x6000, v1
	s_delay_alu instid0(VALU_DEP_1)
	v_add_co_ci_u32_e64 v28, s11, 0, v2, s11
	global_load_b64 v[27:28], v[27:28], off
.LBB6_33:
	s_or_b32 exec_lo, exec_lo, s12
	v_or_b32_e32 v29, 0xd00, v0
	s_delay_alu instid0(VALU_DEP_1) | instskip(NEXT) | instid1(VALU_DEP_1)
	v_cmp_gt_u32_e64 s11, s31, v29
                                        ; implicit-def: $vgpr29_vgpr30
	s_and_saveexec_b32 s13, s11
	s_cbranch_execz .LBB6_35
; %bb.34:
	v_add_co_u32 v29, s12, 0x6000, v1
	s_delay_alu instid0(VALU_DEP_1)
	v_add_co_ci_u32_e64 v30, s12, 0, v2, s12
	global_load_b64 v[29:30], v[29:30], off offset:2048
.LBB6_35:
	s_or_b32 exec_lo, exec_lo, s13
	v_or_b32_e32 v31, 0xe00, v0
	s_delay_alu instid0(VALU_DEP_1) | instskip(NEXT) | instid1(VALU_DEP_1)
	v_cmp_gt_u32_e64 s12, s31, v31
                                        ; implicit-def: $vgpr31_vgpr32
	s_and_saveexec_b32 s14, s12
	s_cbranch_execz .LBB6_37
; %bb.36:
	v_add_co_u32 v31, s13, 0x7000, v1
	s_delay_alu instid0(VALU_DEP_1)
	v_add_co_ci_u32_e64 v32, s13, 0, v2, s13
	global_load_b64 v[31:32], v[31:32], off
.LBB6_37:
	s_or_b32 exec_lo, exec_lo, s14
	v_or_b32_e32 v33, 0xf00, v0
	s_delay_alu instid0(VALU_DEP_1) | instskip(NEXT) | instid1(VALU_DEP_1)
	v_cmp_gt_u32_e64 s13, s31, v33
                                        ; implicit-def: $vgpr33_vgpr34
	s_and_saveexec_b32 s15, s13
	s_cbranch_execz .LBB6_39
; %bb.38:
	v_add_co_u32 v33, s14, 0x7000, v1
	s_delay_alu instid0(VALU_DEP_1)
	v_add_co_ci_u32_e64 v34, s14, 0, v2, s14
	global_load_b64 v[33:34], v[33:34], off offset:2048
.LBB6_39:
	s_or_b32 exec_lo, exec_lo, s15
	v_or_b32_e32 v35, 0x1000, v0
	s_delay_alu instid0(VALU_DEP_1) | instskip(NEXT) | instid1(VALU_DEP_1)
	v_cmp_gt_u32_e64 s14, s31, v35
                                        ; implicit-def: $vgpr35_vgpr36
	s_and_saveexec_b32 s16, s14
	s_cbranch_execz .LBB6_41
; %bb.40:
	v_add_co_u32 v35, s15, 0x8000, v1
	s_delay_alu instid0(VALU_DEP_1)
	v_add_co_ci_u32_e64 v36, s15, 0, v2, s15
	global_load_b64 v[35:36], v[35:36], off
.LBB6_41:
	s_or_b32 exec_lo, exec_lo, s16
	v_or_b32_e32 v37, 0x1100, v0
	s_delay_alu instid0(VALU_DEP_1) | instskip(NEXT) | instid1(VALU_DEP_1)
	v_cmp_gt_u32_e64 s15, s31, v37
                                        ; implicit-def: $vgpr37_vgpr38
	s_and_saveexec_b32 s17, s15
	s_cbranch_execz .LBB6_43
; %bb.42:
	v_add_co_u32 v37, s16, 0x8000, v1
	s_delay_alu instid0(VALU_DEP_1)
	v_add_co_ci_u32_e64 v38, s16, 0, v2, s16
	global_load_b64 v[37:38], v[37:38], off offset:2048
.LBB6_43:
	s_or_b32 exec_lo, exec_lo, s17
	v_or_b32_e32 v39, 0x1200, v0
	s_delay_alu instid0(VALU_DEP_1) | instskip(NEXT) | instid1(VALU_DEP_1)
	v_cmp_gt_u32_e64 s16, s31, v39
                                        ; implicit-def: $vgpr39_vgpr40
	s_and_saveexec_b32 s18, s16
	s_cbranch_execz .LBB6_45
; %bb.44:
	v_add_co_u32 v39, s17, 0x9000, v1
	s_delay_alu instid0(VALU_DEP_1)
	v_add_co_ci_u32_e64 v40, s17, 0, v2, s17
	global_load_b64 v[39:40], v[39:40], off
.LBB6_45:
	s_or_b32 exec_lo, exec_lo, s18
	v_or_b32_e32 v41, 0x1300, v0
	s_delay_alu instid0(VALU_DEP_1) | instskip(NEXT) | instid1(VALU_DEP_1)
	v_cmp_gt_u32_e64 s17, s31, v41
                                        ; implicit-def: $vgpr41_vgpr42
	s_and_saveexec_b32 s19, s17
	s_cbranch_execz .LBB6_47
; %bb.46:
	v_add_co_u32 v41, s18, 0x9000, v1
	s_delay_alu instid0(VALU_DEP_1)
	v_add_co_ci_u32_e64 v42, s18, 0, v2, s18
	global_load_b64 v[41:42], v[41:42], off offset:2048
.LBB6_47:
	s_or_b32 exec_lo, exec_lo, s19
	v_or_b32_e32 v43, 0x1400, v0
	s_delay_alu instid0(VALU_DEP_1) | instskip(NEXT) | instid1(VALU_DEP_1)
	v_cmp_gt_u32_e64 s18, s31, v43
                                        ; implicit-def: $vgpr43_vgpr44
	s_and_saveexec_b32 s20, s18
	s_cbranch_execz .LBB6_49
; %bb.48:
	v_add_co_u32 v43, s19, 0xa000, v1
	s_delay_alu instid0(VALU_DEP_1)
	v_add_co_ci_u32_e64 v44, s19, 0, v2, s19
	global_load_b64 v[43:44], v[43:44], off
.LBB6_49:
	s_or_b32 exec_lo, exec_lo, s20
	v_or_b32_e32 v45, 0x1500, v0
	s_delay_alu instid0(VALU_DEP_1) | instskip(NEXT) | instid1(VALU_DEP_1)
	v_cmp_gt_u32_e64 s19, s31, v45
                                        ; implicit-def: $vgpr45_vgpr46
	s_and_saveexec_b32 s21, s19
	s_cbranch_execz .LBB6_51
; %bb.50:
	v_add_co_u32 v45, s20, 0xa000, v1
	s_delay_alu instid0(VALU_DEP_1)
	v_add_co_ci_u32_e64 v46, s20, 0, v2, s20
	global_load_b64 v[45:46], v[45:46], off offset:2048
.LBB6_51:
	s_or_b32 exec_lo, exec_lo, s21
	v_or_b32_e32 v47, 0x1600, v0
	s_delay_alu instid0(VALU_DEP_1) | instskip(NEXT) | instid1(VALU_DEP_1)
	v_cmp_gt_u32_e64 s20, s31, v47
                                        ; implicit-def: $vgpr47_vgpr48
	s_and_saveexec_b32 s22, s20
	s_cbranch_execz .LBB6_53
; %bb.52:
	v_add_co_u32 v47, s21, 0xb000, v1
	s_delay_alu instid0(VALU_DEP_1)
	v_add_co_ci_u32_e64 v48, s21, 0, v2, s21
	global_load_b64 v[47:48], v[47:48], off
.LBB6_53:
	s_or_b32 exec_lo, exec_lo, s22
	v_or_b32_e32 v49, 0x1700, v0
	s_delay_alu instid0(VALU_DEP_1) | instskip(NEXT) | instid1(VALU_DEP_1)
	v_cmp_gt_u32_e64 s21, s31, v49
                                        ; implicit-def: $vgpr49_vgpr50
	s_and_saveexec_b32 s23, s21
	s_cbranch_execz .LBB6_55
; %bb.54:
	v_add_co_u32 v49, s22, 0xb000, v1
	s_delay_alu instid0(VALU_DEP_1)
	v_add_co_ci_u32_e64 v50, s22, 0, v2, s22
	global_load_b64 v[49:50], v[49:50], off offset:2048
.LBB6_55:
	s_or_b32 exec_lo, exec_lo, s23
	v_or_b32_e32 v51, 0x1800, v0
	s_delay_alu instid0(VALU_DEP_1) | instskip(NEXT) | instid1(VALU_DEP_1)
	v_cmp_gt_u32_e64 s22, s31, v51
                                        ; implicit-def: $vgpr51_vgpr52
	s_and_saveexec_b32 s24, s22
	s_cbranch_execz .LBB6_57
; %bb.56:
	v_add_co_u32 v51, s23, 0xc000, v1
	s_delay_alu instid0(VALU_DEP_1)
	v_add_co_ci_u32_e64 v52, s23, 0, v2, s23
	global_load_b64 v[51:52], v[51:52], off
.LBB6_57:
	s_or_b32 exec_lo, exec_lo, s24
	v_or_b32_e32 v53, 0x1900, v0
	s_delay_alu instid0(VALU_DEP_1) | instskip(NEXT) | instid1(VALU_DEP_1)
	v_cmp_gt_u32_e64 s23, s31, v53
                                        ; implicit-def: $vgpr53_vgpr54
	s_and_saveexec_b32 s25, s23
	s_cbranch_execz .LBB6_59
; %bb.58:
	v_add_co_u32 v53, s24, 0xc000, v1
	s_delay_alu instid0(VALU_DEP_1)
	v_add_co_ci_u32_e64 v54, s24, 0, v2, s24
	global_load_b64 v[53:54], v[53:54], off offset:2048
.LBB6_59:
	s_or_b32 exec_lo, exec_lo, s25
	v_or_b32_e32 v55, 0x1a00, v0
	s_delay_alu instid0(VALU_DEP_1) | instskip(NEXT) | instid1(VALU_DEP_1)
	v_cmp_gt_u32_e64 s24, s31, v55
                                        ; implicit-def: $vgpr55_vgpr56
	s_and_saveexec_b32 s26, s24
	s_cbranch_execz .LBB6_61
; %bb.60:
	v_add_co_u32 v55, s25, 0xd000, v1
	s_delay_alu instid0(VALU_DEP_1)
	v_add_co_ci_u32_e64 v56, s25, 0, v2, s25
	global_load_b64 v[55:56], v[55:56], off
.LBB6_61:
	s_or_b32 exec_lo, exec_lo, s26
	v_or_b32_e32 v57, 0x1b00, v0
	s_delay_alu instid0(VALU_DEP_1) | instskip(NEXT) | instid1(VALU_DEP_1)
	v_cmp_gt_u32_e64 s25, s31, v57
                                        ; implicit-def: $vgpr57_vgpr58
	s_and_saveexec_b32 s27, s25
	s_cbranch_execz .LBB6_63
; %bb.62:
	v_add_co_u32 v57, s26, 0xd000, v1
	s_delay_alu instid0(VALU_DEP_1)
	v_add_co_ci_u32_e64 v58, s26, 0, v2, s26
	global_load_b64 v[57:58], v[57:58], off offset:2048
.LBB6_63:
	s_or_b32 exec_lo, exec_lo, s27
	v_or_b32_e32 v59, 0x1c00, v0
	s_delay_alu instid0(VALU_DEP_1) | instskip(NEXT) | instid1(VALU_DEP_1)
	v_cmp_gt_u32_e64 s26, s31, v59
                                        ; implicit-def: $vgpr59_vgpr60
	s_and_saveexec_b32 s28, s26
	s_cbranch_execz .LBB6_65
; %bb.64:
	v_add_co_u32 v59, s27, 0xe000, v1
	s_delay_alu instid0(VALU_DEP_1)
	v_add_co_ci_u32_e64 v60, s27, 0, v2, s27
	global_load_b64 v[59:60], v[59:60], off
.LBB6_65:
	s_or_b32 exec_lo, exec_lo, s28
	v_or_b32_e32 v61, 0x1d00, v0
	s_delay_alu instid0(VALU_DEP_1) | instskip(NEXT) | instid1(VALU_DEP_1)
	v_cmp_gt_u32_e64 s27, s31, v61
                                        ; implicit-def: $vgpr61_vgpr62
	s_and_saveexec_b32 s29, s27
	s_cbranch_execz .LBB6_67
; %bb.66:
	v_add_co_u32 v61, s28, 0xe000, v1
	s_delay_alu instid0(VALU_DEP_1)
	v_add_co_ci_u32_e64 v62, s28, 0, v2, s28
	global_load_b64 v[61:62], v[61:62], off offset:2048
.LBB6_67:
	s_or_b32 exec_lo, exec_lo, s29
	v_or_b32_e32 v63, 0x1e00, v0
	s_delay_alu instid0(VALU_DEP_1) | instskip(NEXT) | instid1(VALU_DEP_1)
	v_cmp_gt_u32_e64 s28, s31, v63
                                        ; implicit-def: $vgpr63_vgpr64
	s_and_saveexec_b32 s30, s28
	s_cbranch_execz .LBB6_69
; %bb.68:
	v_add_co_u32 v63, s29, 0xf000, v1
	s_delay_alu instid0(VALU_DEP_1)
	v_add_co_ci_u32_e64 v64, s29, 0, v2, s29
	global_load_b64 v[63:64], v[63:64], off
.LBB6_69:
	s_or_b32 exec_lo, exec_lo, s30
	v_or_b32_e32 v65, 0x1f00, v0
	s_delay_alu instid0(VALU_DEP_1) | instskip(NEXT) | instid1(VALU_DEP_1)
	v_cmp_gt_u32_e64 s29, s31, v65
                                        ; implicit-def: $vgpr65_vgpr66
	s_and_saveexec_b32 s33, s29
	s_cbranch_execz .LBB6_71
; %bb.70:
	v_add_co_u32 v1, s30, 0xf000, v1
	s_delay_alu instid0(VALU_DEP_1)
	v_add_co_ci_u32_e64 v2, s30, 0, v2, s30
	global_load_b64 v[65:66], v[1:2], off offset:2048
.LBB6_71:
	s_or_b32 exec_lo, exec_lo, s33
	s_waitcnt vmcnt(0)
	v_add_f64 v[1:2], v[3:4], v[5:6]
	v_add_nc_u32_e32 v6, 1, v67
	s_delay_alu instid0(VALU_DEP_2) | instskip(SKIP_1) | instid1(VALU_DEP_2)
	v_dual_cndmask_b32 v2, v4, v2 :: v_dual_cndmask_b32 v1, v3, v1
	v_cmp_ne_u32_e32 vcc_lo, 31, v67
	v_add_f64 v[3:4], v[1:2], v[7:8]
	v_add_co_ci_u32_e32 v5, vcc_lo, 0, v67, vcc_lo
	s_delay_alu instid0(VALU_DEP_1) | instskip(NEXT) | instid1(VALU_DEP_3)
	v_lshlrev_b32_e32 v5, 2, v5
	v_cndmask_b32_e64 v2, v2, v4, s0
	s_delay_alu instid0(VALU_DEP_4) | instskip(SKIP_1) | instid1(VALU_DEP_1)
	v_cndmask_b32_e64 v1, v1, v3, s0
	s_min_u32 s0, s31, 0x100
	v_add_f64 v[3:4], v[1:2], v[9:10]
	s_delay_alu instid0(VALU_DEP_1) | instskip(NEXT) | instid1(VALU_DEP_2)
	v_cndmask_b32_e64 v2, v2, v4, s1
	v_cndmask_b32_e64 v1, v1, v3, s1
	s_mov_b32 s1, exec_lo
	s_delay_alu instid0(VALU_DEP_1) | instskip(NEXT) | instid1(VALU_DEP_1)
	v_add_f64 v[3:4], v[1:2], v[11:12]
	v_cndmask_b32_e64 v2, v2, v4, s2
	s_delay_alu instid0(VALU_DEP_2) | instskip(NEXT) | instid1(VALU_DEP_1)
	v_cndmask_b32_e64 v1, v1, v3, s2
	v_add_f64 v[3:4], v[1:2], v[13:14]
	s_delay_alu instid0(VALU_DEP_1) | instskip(NEXT) | instid1(VALU_DEP_2)
	v_cndmask_b32_e64 v2, v2, v4, s3
	v_cndmask_b32_e64 v1, v1, v3, s3
	s_delay_alu instid0(VALU_DEP_1) | instskip(NEXT) | instid1(VALU_DEP_1)
	v_add_f64 v[3:4], v[1:2], v[15:16]
	v_cndmask_b32_e64 v2, v2, v4, s4
	s_delay_alu instid0(VALU_DEP_2) | instskip(NEXT) | instid1(VALU_DEP_1)
	v_cndmask_b32_e64 v1, v1, v3, s4
	v_add_f64 v[3:4], v[1:2], v[17:18]
	s_delay_alu instid0(VALU_DEP_1) | instskip(NEXT) | instid1(VALU_DEP_2)
	v_cndmask_b32_e64 v2, v2, v4, s5
	v_cndmask_b32_e64 v1, v1, v3, s5
	;; [unrolled: 9-line block ×14, first 2 shown]
	ds_bpermute_b32 v1, v5, v3
	ds_bpermute_b32 v2, v5, v4
	v_and_b32_e32 v5, 0xe0, v0
	s_delay_alu instid0(VALU_DEP_1) | instskip(NEXT) | instid1(VALU_DEP_1)
	v_sub_nc_u32_e64 v5, s0, v5 clamp
	v_cmpx_lt_u32_e64 v6, v5
	s_cbranch_execz .LBB6_73
; %bb.72:
	s_waitcnt lgkmcnt(0)
	v_add_f64 v[3:4], v[3:4], v[1:2]
.LBB6_73:
	s_or_b32 exec_lo, exec_lo, s1
	v_cmp_gt_u32_e32 vcc_lo, 30, v67
	v_add_nc_u32_e32 v6, 2, v67
	s_mov_b32 s1, exec_lo
	s_waitcnt lgkmcnt(1)
	v_cndmask_b32_e64 v1, 0, 1, vcc_lo
	s_delay_alu instid0(VALU_DEP_1) | instskip(SKIP_1) | instid1(VALU_DEP_1)
	v_lshlrev_b32_e32 v1, 1, v1
	s_waitcnt lgkmcnt(0)
	v_add_lshl_u32 v2, v1, v67, 2
	ds_bpermute_b32 v1, v2, v3
	ds_bpermute_b32 v2, v2, v4
	v_cmpx_lt_u32_e64 v6, v5
	s_cbranch_execz .LBB6_75
; %bb.74:
	s_waitcnt lgkmcnt(0)
	v_add_f64 v[3:4], v[3:4], v[1:2]
.LBB6_75:
	s_or_b32 exec_lo, exec_lo, s1
	v_cmp_gt_u32_e32 vcc_lo, 28, v67
	v_add_nc_u32_e32 v6, 4, v67
	s_mov_b32 s1, exec_lo
	s_waitcnt lgkmcnt(1)
	v_cndmask_b32_e64 v1, 0, 1, vcc_lo
	s_delay_alu instid0(VALU_DEP_1) | instskip(SKIP_1) | instid1(VALU_DEP_1)
	v_lshlrev_b32_e32 v1, 2, v1
	s_waitcnt lgkmcnt(0)
	v_add_lshl_u32 v2, v1, v67, 2
	ds_bpermute_b32 v1, v2, v3
	ds_bpermute_b32 v2, v2, v4
	;; [unrolled: 18-line block ×4, first 2 shown]
	v_cmpx_lt_u32_e64 v6, v5
	s_cbranch_execz .LBB6_81
; %bb.80:
	s_waitcnt lgkmcnt(0)
	v_add_f64 v[3:4], v[3:4], v[1:2]
.LBB6_81:
	s_or_b32 exec_lo, exec_lo, s1
	s_delay_alu instid0(SALU_CYCLE_1)
	s_mov_b32 s1, exec_lo
	v_cmpx_eq_u32_e32 0, v67
	s_cbranch_execz .LBB6_83
; %bb.82:
	s_waitcnt lgkmcnt(1)
	v_lshrrev_b32_e32 v1, 2, v0
	s_delay_alu instid0(VALU_DEP_1)
	v_and_b32_e32 v1, 56, v1
	ds_store_b64 v1, v[3:4] offset:64
.LBB6_83:
	s_or_b32 exec_lo, exec_lo, s1
	s_delay_alu instid0(SALU_CYCLE_1)
	s_mov_b32 s1, exec_lo
	s_waitcnt lgkmcnt(0)
	s_barrier
	buffer_gl0_inv
	v_cmpx_gt_u32_e32 8, v0
	s_cbranch_execz .LBB6_91
; %bb.84:
	v_lshlrev_b32_e32 v1, 3, v67
	v_and_b32_e32 v5, 7, v67
	s_add_i32 s0, s0, 31
	s_mov_b32 s2, exec_lo
	s_lshr_b32 s0, s0, 5
	ds_load_b64 v[3:4], v1 offset:64
	v_cmp_ne_u32_e32 vcc_lo, 7, v5
	v_add_nc_u32_e32 v6, 1, v5
	v_add_co_ci_u32_e32 v1, vcc_lo, 0, v67, vcc_lo
	s_delay_alu instid0(VALU_DEP_1)
	v_lshlrev_b32_e32 v2, 2, v1
	s_waitcnt lgkmcnt(0)
	ds_bpermute_b32 v1, v2, v3
	ds_bpermute_b32 v2, v2, v4
	v_cmpx_gt_u32_e64 s0, v6
	s_cbranch_execz .LBB6_86
; %bb.85:
	s_waitcnt lgkmcnt(0)
	v_add_f64 v[3:4], v[3:4], v[1:2]
.LBB6_86:
	s_or_b32 exec_lo, exec_lo, s2
	v_cmp_gt_u32_e32 vcc_lo, 6, v5
	v_add_nc_u32_e32 v6, 2, v5
	s_mov_b32 s2, exec_lo
	s_waitcnt lgkmcnt(1)
	v_cndmask_b32_e64 v1, 0, 1, vcc_lo
	s_delay_alu instid0(VALU_DEP_1) | instskip(SKIP_1) | instid1(VALU_DEP_1)
	v_lshlrev_b32_e32 v1, 1, v1
	s_waitcnt lgkmcnt(0)
	v_add_lshl_u32 v2, v1, v67, 2
	ds_bpermute_b32 v1, v2, v3
	ds_bpermute_b32 v2, v2, v4
	v_cmpx_gt_u32_e64 s0, v6
	s_cbranch_execz .LBB6_88
; %bb.87:
	s_waitcnt lgkmcnt(0)
	v_add_f64 v[3:4], v[3:4], v[1:2]
.LBB6_88:
	s_or_b32 exec_lo, exec_lo, s2
	v_cmp_gt_u32_e32 vcc_lo, 4, v5
	v_add_nc_u32_e32 v5, 4, v5
	s_waitcnt lgkmcnt(1)
	v_cndmask_b32_e64 v1, 0, 1, vcc_lo
	s_delay_alu instid0(VALU_DEP_2) | instskip(NEXT) | instid1(VALU_DEP_2)
	v_cmp_gt_u32_e32 vcc_lo, s0, v5
	v_lshlrev_b32_e32 v1, 2, v1
	s_waitcnt lgkmcnt(0)
	s_delay_alu instid0(VALU_DEP_1)
	v_add_lshl_u32 v2, v1, v67, 2
	ds_bpermute_b32 v1, v2, v3
	ds_bpermute_b32 v2, v2, v4
	s_and_saveexec_b32 s0, vcc_lo
	s_cbranch_execz .LBB6_90
; %bb.89:
	s_waitcnt lgkmcnt(0)
	v_add_f64 v[3:4], v[3:4], v[1:2]
.LBB6_90:
	s_or_b32 exec_lo, exec_lo, s0
.LBB6_91:
	s_delay_alu instid0(SALU_CYCLE_1)
	s_or_b32 exec_lo, exec_lo, s1
.LBB6_92:
	s_delay_alu instid0(SALU_CYCLE_1)
	s_mov_b32 s0, exec_lo
	v_cmpx_eq_u32_e32 0, v0
	s_cbranch_execz .LBB6_94
; %bb.93:
	s_waitcnt lgkmcnt(1)
	s_delay_alu instid0(VALU_DEP_2)
	v_add_f64 v[0:1], v[3:4], s[42:43]
	s_lshl_b64 s[0:1], s[34:35], 3
	s_waitcnt lgkmcnt(0)
	v_mov_b32_e32 v2, 0
	s_add_u32 s0, s40, s0
	s_addc_u32 s1, s41, s1
	s_cmp_eq_u64 s[38:39], 0
	s_cselect_b32 s2, -1, 0
	s_delay_alu instid0(VALU_DEP_2) | instid1(SALU_CYCLE_1)
	v_cndmask_b32_e64 v1, v1, s43, s2
	s_delay_alu instid0(VALU_DEP_3)
	v_cndmask_b32_e64 v0, v0, s42, s2
	global_store_b64 v2, v[0:1], s[0:1]
.LBB6_94:
	s_nop 0
	s_sendmsg sendmsg(MSG_DEALLOC_VGPRS)
	s_endpgm
	.section	.rodata,"a",@progbits
	.p2align	6, 0x0
	.amdhsa_kernel _ZN7rocprim6detail19block_reduce_kernelILb1ELb1ELj8ENS0_21wrapped_reduce_configINS_14default_configEdEEdPdS5_dN6thrust4plusIdEEEEvT4_mT5_T6_T7_
		.amdhsa_group_segment_fixed_size 128
		.amdhsa_private_segment_fixed_size 0
		.amdhsa_kernarg_size 36
		.amdhsa_user_sgpr_count 15
		.amdhsa_user_sgpr_dispatch_ptr 0
		.amdhsa_user_sgpr_queue_ptr 0
		.amdhsa_user_sgpr_kernarg_segment_ptr 1
		.amdhsa_user_sgpr_dispatch_id 0
		.amdhsa_user_sgpr_private_segment_size 0
		.amdhsa_wavefront_size32 1
		.amdhsa_uses_dynamic_stack 0
		.amdhsa_enable_private_segment 0
		.amdhsa_system_sgpr_workgroup_id_x 1
		.amdhsa_system_sgpr_workgroup_id_y 0
		.amdhsa_system_sgpr_workgroup_id_z 0
		.amdhsa_system_sgpr_workgroup_info 0
		.amdhsa_system_vgpr_workitem_id 0
		.amdhsa_next_free_vgpr 68
		.amdhsa_next_free_sgpr 44
		.amdhsa_reserve_vcc 1
		.amdhsa_float_round_mode_32 0
		.amdhsa_float_round_mode_16_64 0
		.amdhsa_float_denorm_mode_32 3
		.amdhsa_float_denorm_mode_16_64 3
		.amdhsa_dx10_clamp 1
		.amdhsa_ieee_mode 1
		.amdhsa_fp16_overflow 0
		.amdhsa_workgroup_processor_mode 1
		.amdhsa_memory_ordered 1
		.amdhsa_forward_progress 0
		.amdhsa_shared_vgpr_count 0
		.amdhsa_exception_fp_ieee_invalid_op 0
		.amdhsa_exception_fp_denorm_src 0
		.amdhsa_exception_fp_ieee_div_zero 0
		.amdhsa_exception_fp_ieee_overflow 0
		.amdhsa_exception_fp_ieee_underflow 0
		.amdhsa_exception_fp_ieee_inexact 0
		.amdhsa_exception_int_div_zero 0
	.end_amdhsa_kernel
	.section	.text._ZN7rocprim6detail19block_reduce_kernelILb1ELb1ELj8ENS0_21wrapped_reduce_configINS_14default_configEdEEdPdS5_dN6thrust4plusIdEEEEvT4_mT5_T6_T7_,"axG",@progbits,_ZN7rocprim6detail19block_reduce_kernelILb1ELb1ELj8ENS0_21wrapped_reduce_configINS_14default_configEdEEdPdS5_dN6thrust4plusIdEEEEvT4_mT5_T6_T7_,comdat
.Lfunc_end6:
	.size	_ZN7rocprim6detail19block_reduce_kernelILb1ELb1ELj8ENS0_21wrapped_reduce_configINS_14default_configEdEEdPdS5_dN6thrust4plusIdEEEEvT4_mT5_T6_T7_, .Lfunc_end6-_ZN7rocprim6detail19block_reduce_kernelILb1ELb1ELj8ENS0_21wrapped_reduce_configINS_14default_configEdEEdPdS5_dN6thrust4plusIdEEEEvT4_mT5_T6_T7_
                                        ; -- End function
	.section	.AMDGPU.csdata,"",@progbits
; Kernel info:
; codeLenInByte = 5328
; NumSgprs: 46
; NumVgprs: 68
; ScratchSize: 0
; MemoryBound: 0
; FloatMode: 240
; IeeeMode: 1
; LDSByteSize: 128 bytes/workgroup (compile time only)
; SGPRBlocks: 5
; VGPRBlocks: 8
; NumSGPRsForWavesPerEU: 46
; NumVGPRsForWavesPerEU: 68
; Occupancy: 16
; WaveLimiterHint : 1
; COMPUTE_PGM_RSRC2:SCRATCH_EN: 0
; COMPUTE_PGM_RSRC2:USER_SGPR: 15
; COMPUTE_PGM_RSRC2:TRAP_HANDLER: 0
; COMPUTE_PGM_RSRC2:TGID_X_EN: 1
; COMPUTE_PGM_RSRC2:TGID_Y_EN: 0
; COMPUTE_PGM_RSRC2:TGID_Z_EN: 0
; COMPUTE_PGM_RSRC2:TIDIG_COMP_CNT: 0
	.section	.text._ZN7rocprim6detail19block_reduce_kernelILb1ELb1ELj16ENS0_21wrapped_reduce_configINS_14default_configEdEEdPdS5_dN6thrust4plusIdEEEEvT4_mT5_T6_T7_,"axG",@progbits,_ZN7rocprim6detail19block_reduce_kernelILb1ELb1ELj16ENS0_21wrapped_reduce_configINS_14default_configEdEEdPdS5_dN6thrust4plusIdEEEEvT4_mT5_T6_T7_,comdat
	.protected	_ZN7rocprim6detail19block_reduce_kernelILb1ELb1ELj16ENS0_21wrapped_reduce_configINS_14default_configEdEEdPdS5_dN6thrust4plusIdEEEEvT4_mT5_T6_T7_ ; -- Begin function _ZN7rocprim6detail19block_reduce_kernelILb1ELb1ELj16ENS0_21wrapped_reduce_configINS_14default_configEdEEdPdS5_dN6thrust4plusIdEEEEvT4_mT5_T6_T7_
	.globl	_ZN7rocprim6detail19block_reduce_kernelILb1ELb1ELj16ENS0_21wrapped_reduce_configINS_14default_configEdEEdPdS5_dN6thrust4plusIdEEEEvT4_mT5_T6_T7_
	.p2align	8
	.type	_ZN7rocprim6detail19block_reduce_kernelILb1ELb1ELj16ENS0_21wrapped_reduce_configINS_14default_configEdEEdPdS5_dN6thrust4plusIdEEEEvT4_mT5_T6_T7_,@function
_ZN7rocprim6detail19block_reduce_kernelILb1ELb1ELj16ENS0_21wrapped_reduce_configINS_14default_configEdEEdPdS5_dN6thrust4plusIdEEEEvT4_mT5_T6_T7_: ; @_ZN7rocprim6detail19block_reduce_kernelILb1ELb1ELj16ENS0_21wrapped_reduce_configINS_14default_configEdEEdPdS5_dN6thrust4plusIdEEEEvT4_mT5_T6_T7_
; %bb.0:
	s_load_b256 s[64:71], s[0:1], 0x0
	s_mov_b32 s1, 0
	s_lshl_b32 s0, s15, 14
	v_lshlrev_b32_e32 v1, 3, v0
	s_lshl_b64 s[2:3], s[0:1], 3
	s_mov_b32 s73, s1
	v_mbcnt_lo_u32_b32 v131, -1, 0
	s_mov_b32 s72, s15
	s_waitcnt lgkmcnt(0)
	s_lshr_b64 s[4:5], s[66:67], 14
	s_add_u32 s1, s64, s2
	s_addc_u32 s2, s65, s3
	v_add_co_u32 v1, s1, s1, v1
	s_delay_alu instid0(VALU_DEP_1)
	v_add_co_ci_u32_e64 v2, null, s2, 0, s1
	s_cmp_lg_u64 s[4:5], s[72:73]
	s_cbranch_scc0 .LBB7_6
; %bb.1:
	s_clause 0x1
	global_load_b64 v[3:4], v[1:2], off
	global_load_b64 v[5:6], v[1:2], off offset:2048
	v_add_co_u32 v7, vcc_lo, v1, 0x2000
	v_add_co_ci_u32_e32 v8, vcc_lo, 0, v2, vcc_lo
	v_add_co_u32 v11, vcc_lo, 0x1000, v1
	v_add_co_ci_u32_e32 v12, vcc_lo, 0, v2, vcc_lo
	s_clause 0x2
	global_load_b64 v[9:10], v[7:8], off offset:-4096
	global_load_b64 v[11:12], v[11:12], off offset:2048
	global_load_b64 v[7:8], v[7:8], off
	v_add_co_u32 v13, vcc_lo, 0x2000, v1
	v_add_co_ci_u32_e32 v14, vcc_lo, 0, v2, vcc_lo
	v_add_co_u32 v15, vcc_lo, v1, 0x4000
	v_add_co_ci_u32_e32 v16, vcc_lo, 0, v2, vcc_lo
	global_load_b64 v[13:14], v[13:14], off offset:2048
	v_add_co_u32 v19, vcc_lo, 0x3000, v1
	global_load_b64 v[17:18], v[15:16], off offset:-4096
	v_add_co_ci_u32_e32 v20, vcc_lo, 0, v2, vcc_lo
	s_clause 0x1
	global_load_b64 v[19:20], v[19:20], off offset:2048
	global_load_b64 v[15:16], v[15:16], off
	v_add_co_u32 v21, vcc_lo, 0x4000, v1
	v_add_co_ci_u32_e32 v22, vcc_lo, 0, v2, vcc_lo
	s_mov_b32 s1, exec_lo
	global_load_b64 v[21:22], v[21:22], off offset:2048
	s_waitcnt vmcnt(8)
	v_add_f64 v[3:4], v[3:4], v[5:6]
	v_add_co_u32 v5, vcc_lo, v1, 0x6000
	v_add_co_ci_u32_e32 v6, vcc_lo, 0, v2, vcc_lo
	v_add_co_u32 v25, vcc_lo, 0x1f000, v1
	v_add_co_ci_u32_e32 v26, vcc_lo, 0, v2, vcc_lo
	s_clause 0x1
	global_load_b64 v[23:24], v[5:6], off offset:-4096
	global_load_b64 v[27:28], v[25:26], off offset:2048
	s_waitcnt vmcnt(9)
	v_add_f64 v[3:4], v[3:4], v[9:10]
	v_add_co_u32 v9, vcc_lo, 0x5000, v1
	v_add_co_ci_u32_e32 v10, vcc_lo, 0, v2, vcc_lo
	global_load_b64 v[9:10], v[9:10], off offset:2048
	s_waitcnt vmcnt(9)
	v_add_f64 v[3:4], v[3:4], v[11:12]
	s_waitcnt vmcnt(8)
	s_delay_alu instid0(VALU_DEP_1)
	v_add_f64 v[3:4], v[3:4], v[7:8]
	v_add_co_u32 v7, vcc_lo, 0x6000, v1
	v_add_co_ci_u32_e32 v8, vcc_lo, 0, v2, vcc_lo
	v_add_co_u32 v11, vcc_lo, v1, 0x8000
	v_add_co_ci_u32_e32 v12, vcc_lo, 0, v2, vcc_lo
	global_load_b64 v[7:8], v[7:8], off offset:2048
	s_waitcnt vmcnt(8)
	v_add_f64 v[3:4], v[3:4], v[13:14]
	global_load_b64 v[13:14], v[11:12], off offset:-4096
	s_waitcnt vmcnt(8)
	v_add_f64 v[3:4], v[3:4], v[17:18]
	v_add_co_u32 v17, vcc_lo, 0x7000, v1
	v_add_co_ci_u32_e32 v18, vcc_lo, 0, v2, vcc_lo
	global_load_b64 v[17:18], v[17:18], off offset:2048
	s_waitcnt vmcnt(8)
	v_add_f64 v[3:4], v[3:4], v[19:20]
	s_waitcnt vmcnt(7)
	s_delay_alu instid0(VALU_DEP_1)
	v_add_f64 v[3:4], v[3:4], v[15:16]
	v_add_co_u32 v15, vcc_lo, 0x8000, v1
	v_add_co_ci_u32_e32 v16, vcc_lo, 0, v2, vcc_lo
	v_add_co_u32 v19, vcc_lo, v1, 0xa000
	v_add_co_ci_u32_e32 v20, vcc_lo, 0, v2, vcc_lo
	s_clause 0x1
	global_load_b64 v[15:16], v[15:16], off offset:2048
	global_load_b64 v[5:6], v[5:6], off
	s_waitcnt vmcnt(8)
	v_add_f64 v[3:4], v[3:4], v[21:22]
	global_load_b64 v[21:22], v[19:20], off offset:-4096
	s_waitcnt vmcnt(8)
	v_add_f64 v[3:4], v[3:4], v[23:24]
	v_add_co_u32 v23, vcc_lo, 0x9000, v1
	v_add_co_ci_u32_e32 v24, vcc_lo, 0, v2, vcc_lo
	global_load_b64 v[23:24], v[23:24], off offset:2048
	s_waitcnt vmcnt(7)
	v_add_f64 v[3:4], v[3:4], v[9:10]
	global_load_b64 v[9:10], v[19:20], off
	s_waitcnt vmcnt(3)
	v_add_f64 v[3:4], v[3:4], v[5:6]
	v_add_co_u32 v5, vcc_lo, 0xa000, v1
	v_add_co_ci_u32_e32 v6, vcc_lo, 0, v2, vcc_lo
	global_load_b64 v[5:6], v[5:6], off offset:2048
	v_add_f64 v[3:4], v[3:4], v[7:8]
	v_add_co_u32 v7, vcc_lo, v1, 0xc000
	v_add_co_ci_u32_e32 v8, vcc_lo, 0, v2, vcc_lo
	s_clause 0x1
	global_load_b64 v[19:20], v[7:8], off offset:-4096
	global_load_b64 v[11:12], v[11:12], off
	v_add_f64 v[3:4], v[3:4], v[13:14]
	v_add_co_u32 v13, vcc_lo, 0xb000, v1
	v_add_co_ci_u32_e32 v14, vcc_lo, 0, v2, vcc_lo
	global_load_b64 v[13:14], v[13:14], off offset:2048
	v_add_f64 v[3:4], v[3:4], v[17:18]
	s_waitcnt vmcnt(1)
	s_delay_alu instid0(VALU_DEP_1)
	v_add_f64 v[3:4], v[3:4], v[11:12]
	v_add_co_u32 v11, vcc_lo, 0xc000, v1
	v_add_co_ci_u32_e32 v12, vcc_lo, 0, v2, vcc_lo
	global_load_b64 v[11:12], v[11:12], off offset:2048
	v_add_f64 v[3:4], v[3:4], v[15:16]
	v_add_co_u32 v15, vcc_lo, v1, 0xe000
	v_add_co_ci_u32_e32 v16, vcc_lo, 0, v2, vcc_lo
	global_load_b64 v[17:18], v[15:16], off offset:-4096
	v_add_f64 v[3:4], v[3:4], v[21:22]
	v_add_co_u32 v21, vcc_lo, 0xd000, v1
	v_add_co_ci_u32_e32 v22, vcc_lo, 0, v2, vcc_lo
	global_load_b64 v[21:22], v[21:22], off offset:2048
	v_add_f64 v[3:4], v[3:4], v[23:24]
	s_delay_alu instid0(VALU_DEP_1)
	v_add_f64 v[3:4], v[3:4], v[9:10]
	v_add_co_u32 v9, vcc_lo, 0xe000, v1
	v_add_co_ci_u32_e32 v10, vcc_lo, 0, v2, vcc_lo
	global_load_b64 v[9:10], v[9:10], off offset:2048
	v_add_f64 v[3:4], v[3:4], v[5:6]
	v_add_co_u32 v5, vcc_lo, v1, 0x10000
	v_add_co_ci_u32_e32 v6, vcc_lo, 0, v2, vcc_lo
	s_clause 0x1
	global_load_b64 v[23:24], v[5:6], off offset:-4096
	global_load_b64 v[7:8], v[7:8], off
	v_add_f64 v[3:4], v[3:4], v[19:20]
	v_add_co_u32 v19, vcc_lo, 0xf000, v1
	v_add_co_ci_u32_e32 v20, vcc_lo, 0, v2, vcc_lo
	s_clause 0x1
	global_load_b64 v[19:20], v[19:20], off offset:2048
	global_load_b64 v[5:6], v[5:6], off
	s_waitcnt vmcnt(8)
	v_add_f64 v[3:4], v[3:4], v[13:14]
	s_waitcnt vmcnt(2)
	s_delay_alu instid0(VALU_DEP_1)
	v_add_f64 v[3:4], v[3:4], v[7:8]
	v_add_co_u32 v7, vcc_lo, 0x10000, v1
	v_add_co_ci_u32_e32 v8, vcc_lo, 0, v2, vcc_lo
	global_load_b64 v[7:8], v[7:8], off offset:2048
	v_add_f64 v[3:4], v[3:4], v[11:12]
	v_add_co_u32 v11, vcc_lo, v1, 0x12000
	v_add_co_ci_u32_e32 v12, vcc_lo, 0, v2, vcc_lo
	s_clause 0x2
	global_load_b64 v[13:14], v[11:12], off offset:-4096
	global_load_b64 v[15:16], v[15:16], off
	global_load_b64 v[11:12], v[11:12], off
	v_add_f64 v[3:4], v[3:4], v[17:18]
	v_add_co_u32 v17, vcc_lo, 0x11000, v1
	v_add_co_ci_u32_e32 v18, vcc_lo, 0, v2, vcc_lo
	global_load_b64 v[17:18], v[17:18], off offset:2048
	v_add_f64 v[3:4], v[3:4], v[21:22]
	s_waitcnt vmcnt(2)
	s_delay_alu instid0(VALU_DEP_1)
	v_add_f64 v[3:4], v[3:4], v[15:16]
	v_add_co_u32 v15, vcc_lo, 0x12000, v1
	v_add_co_ci_u32_e32 v16, vcc_lo, 0, v2, vcc_lo
	global_load_b64 v[15:16], v[15:16], off offset:2048
	v_add_f64 v[3:4], v[3:4], v[9:10]
	v_add_co_u32 v9, vcc_lo, v1, 0x14000
	v_add_co_ci_u32_e32 v10, vcc_lo, 0, v2, vcc_lo
	global_load_b64 v[21:22], v[9:10], off offset:-4096
	v_add_f64 v[3:4], v[3:4], v[23:24]
	v_add_co_u32 v23, vcc_lo, 0x13000, v1
	v_add_co_ci_u32_e32 v24, vcc_lo, 0, v2, vcc_lo
	global_load_b64 v[23:24], v[23:24], off offset:2048
	v_add_f64 v[3:4], v[3:4], v[19:20]
	s_delay_alu instid0(VALU_DEP_1)
	v_add_f64 v[3:4], v[3:4], v[5:6]
	v_add_co_u32 v5, vcc_lo, 0x14000, v1
	v_add_co_ci_u32_e32 v6, vcc_lo, 0, v2, vcc_lo
	global_load_b64 v[5:6], v[5:6], off offset:2048
	v_add_f64 v[3:4], v[3:4], v[7:8]
	v_add_co_u32 v7, vcc_lo, v1, 0x16000
	v_add_co_ci_u32_e32 v8, vcc_lo, 0, v2, vcc_lo
	s_clause 0x1
	global_load_b64 v[19:20], v[7:8], off offset:-4096
	global_load_b64 v[9:10], v[9:10], off
	v_add_f64 v[3:4], v[3:4], v[13:14]
	v_add_co_u32 v13, vcc_lo, 0x15000, v1
	v_add_co_ci_u32_e32 v14, vcc_lo, 0, v2, vcc_lo
	global_load_b64 v[13:14], v[13:14], off offset:2048
	s_waitcnt vmcnt(7)
	v_add_f64 v[3:4], v[3:4], v[17:18]
	s_delay_alu instid0(VALU_DEP_1)
	v_add_f64 v[3:4], v[3:4], v[11:12]
	v_add_co_u32 v11, vcc_lo, 0x16000, v1
	v_add_co_ci_u32_e32 v12, vcc_lo, 0, v2, vcc_lo
	global_load_b64 v[11:12], v[11:12], off offset:2048
	s_waitcnt vmcnt(7)
	v_add_f64 v[3:4], v[3:4], v[15:16]
	v_add_co_u32 v15, vcc_lo, v1, 0x18000
	v_add_co_ci_u32_e32 v16, vcc_lo, 0, v2, vcc_lo
	global_load_b64 v[17:18], v[15:16], off offset:-4096
	s_waitcnt vmcnt(7)
	v_add_f64 v[3:4], v[3:4], v[21:22]
	v_add_co_u32 v21, vcc_lo, 0x17000, v1
	v_add_co_ci_u32_e32 v22, vcc_lo, 0, v2, vcc_lo
	s_clause 0x1
	global_load_b64 v[21:22], v[21:22], off offset:2048
	global_load_b64 v[15:16], v[15:16], off
	s_waitcnt vmcnt(8)
	v_add_f64 v[3:4], v[3:4], v[23:24]
	s_waitcnt vmcnt(5)
	s_delay_alu instid0(VALU_DEP_1)
	v_add_f64 v[3:4], v[3:4], v[9:10]
	v_add_co_u32 v9, vcc_lo, 0x18000, v1
	v_add_co_ci_u32_e32 v10, vcc_lo, 0, v2, vcc_lo
	global_load_b64 v[9:10], v[9:10], off offset:2048
	v_add_f64 v[3:4], v[3:4], v[5:6]
	v_add_co_u32 v5, vcc_lo, v1, 0x1a000
	v_add_co_ci_u32_e32 v6, vcc_lo, 0, v2, vcc_lo
	s_clause 0x2
	global_load_b64 v[23:24], v[5:6], off offset:-4096
	global_load_b64 v[7:8], v[7:8], off
	global_load_b64 v[5:6], v[5:6], off
	v_add_f64 v[3:4], v[3:4], v[19:20]
	v_add_co_u32 v19, vcc_lo, 0x19000, v1
	v_add_co_ci_u32_e32 v20, vcc_lo, 0, v2, vcc_lo
	global_load_b64 v[19:20], v[19:20], off offset:2048
	s_waitcnt vmcnt(9)
	v_add_f64 v[3:4], v[3:4], v[13:14]
	s_waitcnt vmcnt(2)
	s_delay_alu instid0(VALU_DEP_1)
	v_add_f64 v[3:4], v[3:4], v[7:8]
	v_add_co_u32 v7, vcc_lo, 0x1a000, v1
	v_add_co_ci_u32_e32 v8, vcc_lo, 0, v2, vcc_lo
	global_load_b64 v[7:8], v[7:8], off offset:2048
	v_add_f64 v[3:4], v[3:4], v[11:12]
	v_add_co_u32 v11, vcc_lo, v1, 0x1c000
	v_add_co_ci_u32_e32 v12, vcc_lo, 0, v2, vcc_lo
	global_load_b64 v[13:14], v[11:12], off offset:-4096
	v_add_f64 v[3:4], v[3:4], v[17:18]
	v_add_co_u32 v17, vcc_lo, 0x1b000, v1
	v_add_co_ci_u32_e32 v18, vcc_lo, 0, v2, vcc_lo
	global_load_b64 v[17:18], v[17:18], off offset:2048
	v_add_f64 v[3:4], v[3:4], v[21:22]
	s_delay_alu instid0(VALU_DEP_1)
	v_add_f64 v[3:4], v[3:4], v[15:16]
	v_add_co_u32 v15, vcc_lo, 0x1c000, v1
	v_add_co_ci_u32_e32 v16, vcc_lo, 0, v2, vcc_lo
	global_load_b64 v[15:16], v[15:16], off offset:2048
	v_add_f64 v[3:4], v[3:4], v[9:10]
	v_add_co_u32 v9, vcc_lo, v1, 0x1e000
	v_add_co_ci_u32_e32 v10, vcc_lo, 0, v2, vcc_lo
	s_clause 0x2
	global_load_b64 v[21:22], v[9:10], off offset:-4096
	global_load_b64 v[11:12], v[11:12], off
	global_load_b64 v[9:10], v[9:10], off
	v_add_f64 v[3:4], v[3:4], v[23:24]
	v_add_co_u32 v23, vcc_lo, 0x1d000, v1
	v_add_co_ci_u32_e32 v24, vcc_lo, 0, v2, vcc_lo
	global_load_b64 v[23:24], v[23:24], off offset:2048
	s_waitcnt vmcnt(8)
	v_add_f64 v[3:4], v[3:4], v[19:20]
	s_delay_alu instid0(VALU_DEP_1)
	v_add_f64 v[3:4], v[3:4], v[5:6]
	v_add_co_u32 v5, vcc_lo, 0x1e000, v1
	v_add_co_ci_u32_e32 v6, vcc_lo, 0, v2, vcc_lo
	global_load_b64 v[5:6], v[5:6], off offset:2048
	s_waitcnt vmcnt(8)
	v_add_f64 v[3:4], v[3:4], v[7:8]
	global_load_b64 v[7:8], v[25:26], off
	s_waitcnt vmcnt(8)
	v_add_f64 v[3:4], v[3:4], v[13:14]
	s_waitcnt vmcnt(7)
	s_delay_alu instid0(VALU_DEP_1) | instskip(SKIP_1) | instid1(VALU_DEP_1)
	v_add_f64 v[3:4], v[3:4], v[17:18]
	s_waitcnt vmcnt(4)
	v_add_f64 v[3:4], v[3:4], v[11:12]
	s_delay_alu instid0(VALU_DEP_1) | instskip(NEXT) | instid1(VALU_DEP_1)
	v_add_f64 v[3:4], v[3:4], v[15:16]
	v_add_f64 v[3:4], v[3:4], v[21:22]
	s_waitcnt vmcnt(2)
	s_delay_alu instid0(VALU_DEP_1) | instskip(NEXT) | instid1(VALU_DEP_1)
	v_add_f64 v[3:4], v[3:4], v[23:24]
	v_add_f64 v[3:4], v[3:4], v[9:10]
	s_waitcnt vmcnt(1)
	s_delay_alu instid0(VALU_DEP_1) | instskip(SKIP_1) | instid1(VALU_DEP_1)
	v_add_f64 v[3:4], v[3:4], v[5:6]
	s_waitcnt vmcnt(0)
	v_add_f64 v[3:4], v[3:4], v[7:8]
	s_delay_alu instid0(VALU_DEP_1) | instskip(NEXT) | instid1(VALU_DEP_1)
	v_add_f64 v[3:4], v[3:4], v[27:28]
	v_mov_b32_dpp v5, v3 quad_perm:[1,0,3,2] row_mask:0xf bank_mask:0xf
	s_delay_alu instid0(VALU_DEP_2) | instskip(NEXT) | instid1(VALU_DEP_1)
	v_mov_b32_dpp v6, v4 quad_perm:[1,0,3,2] row_mask:0xf bank_mask:0xf
	v_add_f64 v[3:4], v[3:4], v[5:6]
	s_delay_alu instid0(VALU_DEP_1) | instskip(NEXT) | instid1(VALU_DEP_2)
	v_mov_b32_dpp v5, v3 quad_perm:[2,3,0,1] row_mask:0xf bank_mask:0xf
	v_mov_b32_dpp v6, v4 quad_perm:[2,3,0,1] row_mask:0xf bank_mask:0xf
	s_delay_alu instid0(VALU_DEP_1) | instskip(NEXT) | instid1(VALU_DEP_1)
	v_add_f64 v[3:4], v[3:4], v[5:6]
	v_mov_b32_dpp v5, v3 row_ror:4 row_mask:0xf bank_mask:0xf
	s_delay_alu instid0(VALU_DEP_2) | instskip(NEXT) | instid1(VALU_DEP_1)
	v_mov_b32_dpp v6, v4 row_ror:4 row_mask:0xf bank_mask:0xf
	v_add_f64 v[3:4], v[3:4], v[5:6]
	s_delay_alu instid0(VALU_DEP_1) | instskip(NEXT) | instid1(VALU_DEP_2)
	v_mov_b32_dpp v5, v3 row_ror:8 row_mask:0xf bank_mask:0xf
	v_mov_b32_dpp v6, v4 row_ror:8 row_mask:0xf bank_mask:0xf
	s_delay_alu instid0(VALU_DEP_1)
	v_add_f64 v[3:4], v[3:4], v[5:6]
	ds_swizzle_b32 v5, v3 offset:swizzle(BROADCAST,32,15)
	ds_swizzle_b32 v6, v4 offset:swizzle(BROADCAST,32,15)
	s_waitcnt lgkmcnt(0)
	v_add_f64 v[3:4], v[3:4], v[5:6]
	v_mov_b32_e32 v5, 0
	ds_bpermute_b32 v3, v5, v3 offset:124
	ds_bpermute_b32 v4, v5, v4 offset:124
	v_cmpx_eq_u32_e32 0, v131
	s_cbranch_execz .LBB7_3
; %bb.2:
	v_lshrrev_b32_e32 v5, 2, v0
	s_delay_alu instid0(VALU_DEP_1)
	v_and_b32_e32 v5, 56, v5
	s_waitcnt lgkmcnt(0)
	ds_store_b64 v5, v[3:4]
.LBB7_3:
	s_or_b32 exec_lo, exec_lo, s1
	s_delay_alu instid0(SALU_CYCLE_1)
	s_mov_b32 s1, exec_lo
	s_waitcnt lgkmcnt(0)
	s_barrier
	buffer_gl0_inv
	v_cmpx_gt_u32_e32 32, v0
	s_cbranch_execz .LBB7_5
; %bb.4:
	v_and_b32_e32 v7, 7, v131
	s_delay_alu instid0(VALU_DEP_1) | instskip(SKIP_4) | instid1(VALU_DEP_2)
	v_lshlrev_b32_e32 v3, 3, v7
	v_cmp_ne_u32_e32 vcc_lo, 7, v7
	ds_load_b64 v[3:4], v3
	v_add_co_ci_u32_e32 v5, vcc_lo, 0, v131, vcc_lo
	v_cmp_gt_u32_e32 vcc_lo, 6, v7
	v_lshlrev_b32_e32 v6, 2, v5
	s_waitcnt lgkmcnt(0)
	ds_bpermute_b32 v5, v6, v3
	ds_bpermute_b32 v6, v6, v4
	s_waitcnt lgkmcnt(0)
	v_add_f64 v[3:4], v[3:4], v[5:6]
	v_cndmask_b32_e64 v5, 0, 1, vcc_lo
	v_cmp_gt_u32_e32 vcc_lo, 4, v7
	s_delay_alu instid0(VALU_DEP_2) | instskip(NEXT) | instid1(VALU_DEP_1)
	v_lshlrev_b32_e32 v5, 1, v5
	v_add_lshl_u32 v6, v5, v131, 2
	ds_bpermute_b32 v5, v6, v3
	ds_bpermute_b32 v6, v6, v4
	s_waitcnt lgkmcnt(0)
	v_add_f64 v[3:4], v[3:4], v[5:6]
	v_cndmask_b32_e64 v5, 0, 1, vcc_lo
	s_delay_alu instid0(VALU_DEP_1) | instskip(NEXT) | instid1(VALU_DEP_1)
	v_lshlrev_b32_e32 v5, 2, v5
	v_add_lshl_u32 v6, v5, v131, 2
	ds_bpermute_b32 v5, v6, v3
	ds_bpermute_b32 v6, v6, v4
	s_waitcnt lgkmcnt(0)
	v_add_f64 v[3:4], v[3:4], v[5:6]
.LBB7_5:
	s_or_b32 exec_lo, exec_lo, s1
	s_branch .LBB7_156
.LBB7_6:
                                        ; implicit-def: $vgpr3_vgpr4
	s_cbranch_execz .LBB7_156
; %bb.7:
	s_sub_i32 s64, s66, s0
	s_mov_b32 s0, exec_lo
                                        ; implicit-def: $vgpr3_vgpr4
	v_cmpx_gt_u32_e64 s64, v0
	s_cbranch_execz .LBB7_9
; %bb.8:
	global_load_b64 v[3:4], v[1:2], off
.LBB7_9:
	s_or_b32 exec_lo, exec_lo, s0
	v_or_b32_e32 v5, 0x100, v0
	s_delay_alu instid0(VALU_DEP_1)
	v_cmp_gt_u32_e32 vcc_lo, s64, v5
                                        ; implicit-def: $vgpr5_vgpr6
	s_and_saveexec_b32 s0, vcc_lo
	s_cbranch_execz .LBB7_11
; %bb.10:
	global_load_b64 v[5:6], v[1:2], off offset:2048
.LBB7_11:
	s_or_b32 exec_lo, exec_lo, s0
	v_or_b32_e32 v7, 0x200, v0
	s_delay_alu instid0(VALU_DEP_1) | instskip(NEXT) | instid1(VALU_DEP_1)
	v_cmp_gt_u32_e64 s0, s64, v7
                                        ; implicit-def: $vgpr7_vgpr8
	s_and_saveexec_b32 s2, s0
	s_cbranch_execz .LBB7_13
; %bb.12:
	v_add_co_u32 v7, s1, 0x1000, v1
	s_delay_alu instid0(VALU_DEP_1)
	v_add_co_ci_u32_e64 v8, s1, 0, v2, s1
	global_load_b64 v[7:8], v[7:8], off
.LBB7_13:
	s_or_b32 exec_lo, exec_lo, s2
	v_or_b32_e32 v9, 0x300, v0
	s_delay_alu instid0(VALU_DEP_1) | instskip(NEXT) | instid1(VALU_DEP_1)
	v_cmp_gt_u32_e64 s1, s64, v9
                                        ; implicit-def: $vgpr9_vgpr10
	s_and_saveexec_b32 s3, s1
	s_cbranch_execz .LBB7_15
; %bb.14:
	v_add_co_u32 v9, s2, 0x1000, v1
	s_delay_alu instid0(VALU_DEP_1)
	v_add_co_ci_u32_e64 v10, s2, 0, v2, s2
	global_load_b64 v[9:10], v[9:10], off offset:2048
.LBB7_15:
	s_or_b32 exec_lo, exec_lo, s3
	v_or_b32_e32 v11, 0x400, v0
	s_delay_alu instid0(VALU_DEP_1) | instskip(NEXT) | instid1(VALU_DEP_1)
	v_cmp_gt_u32_e64 s2, s64, v11
                                        ; implicit-def: $vgpr11_vgpr12
	s_and_saveexec_b32 s4, s2
	s_cbranch_execz .LBB7_17
; %bb.16:
	v_add_co_u32 v11, s3, 0x2000, v1
	s_delay_alu instid0(VALU_DEP_1)
	v_add_co_ci_u32_e64 v12, s3, 0, v2, s3
	global_load_b64 v[11:12], v[11:12], off
.LBB7_17:
	s_or_b32 exec_lo, exec_lo, s4
	v_or_b32_e32 v13, 0x500, v0
	s_delay_alu instid0(VALU_DEP_1) | instskip(NEXT) | instid1(VALU_DEP_1)
	v_cmp_gt_u32_e64 s3, s64, v13
                                        ; implicit-def: $vgpr13_vgpr14
	s_and_saveexec_b32 s5, s3
	s_cbranch_execz .LBB7_19
; %bb.18:
	v_add_co_u32 v13, s4, 0x2000, v1
	s_delay_alu instid0(VALU_DEP_1)
	v_add_co_ci_u32_e64 v14, s4, 0, v2, s4
	global_load_b64 v[13:14], v[13:14], off offset:2048
.LBB7_19:
	s_or_b32 exec_lo, exec_lo, s5
	v_or_b32_e32 v15, 0x600, v0
	s_delay_alu instid0(VALU_DEP_1) | instskip(NEXT) | instid1(VALU_DEP_1)
	v_cmp_gt_u32_e64 s4, s64, v15
                                        ; implicit-def: $vgpr15_vgpr16
	s_and_saveexec_b32 s6, s4
	s_cbranch_execz .LBB7_21
; %bb.20:
	v_add_co_u32 v15, s5, 0x3000, v1
	s_delay_alu instid0(VALU_DEP_1)
	v_add_co_ci_u32_e64 v16, s5, 0, v2, s5
	global_load_b64 v[15:16], v[15:16], off
.LBB7_21:
	s_or_b32 exec_lo, exec_lo, s6
	v_or_b32_e32 v17, 0x700, v0
	s_delay_alu instid0(VALU_DEP_1) | instskip(NEXT) | instid1(VALU_DEP_1)
	v_cmp_gt_u32_e64 s5, s64, v17
                                        ; implicit-def: $vgpr17_vgpr18
	s_and_saveexec_b32 s7, s5
	s_cbranch_execz .LBB7_23
; %bb.22:
	v_add_co_u32 v17, s6, 0x3000, v1
	s_delay_alu instid0(VALU_DEP_1)
	v_add_co_ci_u32_e64 v18, s6, 0, v2, s6
	global_load_b64 v[17:18], v[17:18], off offset:2048
.LBB7_23:
	s_or_b32 exec_lo, exec_lo, s7
	v_or_b32_e32 v19, 0x800, v0
	s_delay_alu instid0(VALU_DEP_1) | instskip(NEXT) | instid1(VALU_DEP_1)
	v_cmp_gt_u32_e64 s6, s64, v19
                                        ; implicit-def: $vgpr19_vgpr20
	s_and_saveexec_b32 s8, s6
	s_cbranch_execz .LBB7_25
; %bb.24:
	v_add_co_u32 v19, s7, 0x4000, v1
	s_delay_alu instid0(VALU_DEP_1)
	v_add_co_ci_u32_e64 v20, s7, 0, v2, s7
	global_load_b64 v[19:20], v[19:20], off
.LBB7_25:
	s_or_b32 exec_lo, exec_lo, s8
	v_or_b32_e32 v21, 0x900, v0
	s_delay_alu instid0(VALU_DEP_1) | instskip(NEXT) | instid1(VALU_DEP_1)
	v_cmp_gt_u32_e64 s7, s64, v21
                                        ; implicit-def: $vgpr21_vgpr22
	s_and_saveexec_b32 s9, s7
	s_cbranch_execz .LBB7_27
; %bb.26:
	v_add_co_u32 v21, s8, 0x4000, v1
	s_delay_alu instid0(VALU_DEP_1)
	v_add_co_ci_u32_e64 v22, s8, 0, v2, s8
	global_load_b64 v[21:22], v[21:22], off offset:2048
.LBB7_27:
	s_or_b32 exec_lo, exec_lo, s9
	v_or_b32_e32 v23, 0xa00, v0
	s_delay_alu instid0(VALU_DEP_1) | instskip(NEXT) | instid1(VALU_DEP_1)
	v_cmp_gt_u32_e64 s8, s64, v23
                                        ; implicit-def: $vgpr23_vgpr24
	s_and_saveexec_b32 s10, s8
	s_cbranch_execz .LBB7_29
; %bb.28:
	v_add_co_u32 v23, s9, 0x5000, v1
	s_delay_alu instid0(VALU_DEP_1)
	v_add_co_ci_u32_e64 v24, s9, 0, v2, s9
	global_load_b64 v[23:24], v[23:24], off
.LBB7_29:
	s_or_b32 exec_lo, exec_lo, s10
	v_or_b32_e32 v25, 0xb00, v0
	s_delay_alu instid0(VALU_DEP_1) | instskip(NEXT) | instid1(VALU_DEP_1)
	v_cmp_gt_u32_e64 s9, s64, v25
                                        ; implicit-def: $vgpr25_vgpr26
	s_and_saveexec_b32 s11, s9
	s_cbranch_execz .LBB7_31
; %bb.30:
	v_add_co_u32 v25, s10, 0x5000, v1
	s_delay_alu instid0(VALU_DEP_1)
	v_add_co_ci_u32_e64 v26, s10, 0, v2, s10
	global_load_b64 v[25:26], v[25:26], off offset:2048
.LBB7_31:
	s_or_b32 exec_lo, exec_lo, s11
	v_or_b32_e32 v27, 0xc00, v0
	s_delay_alu instid0(VALU_DEP_1) | instskip(NEXT) | instid1(VALU_DEP_1)
	v_cmp_gt_u32_e64 s10, s64, v27
                                        ; implicit-def: $vgpr27_vgpr28
	s_and_saveexec_b32 s12, s10
	s_cbranch_execz .LBB7_33
; %bb.32:
	v_add_co_u32 v27, s11, 0x6000, v1
	s_delay_alu instid0(VALU_DEP_1)
	v_add_co_ci_u32_e64 v28, s11, 0, v2, s11
	global_load_b64 v[27:28], v[27:28], off
.LBB7_33:
	s_or_b32 exec_lo, exec_lo, s12
	v_or_b32_e32 v29, 0xd00, v0
	s_delay_alu instid0(VALU_DEP_1) | instskip(NEXT) | instid1(VALU_DEP_1)
	v_cmp_gt_u32_e64 s11, s64, v29
                                        ; implicit-def: $vgpr29_vgpr30
	s_and_saveexec_b32 s13, s11
	s_cbranch_execz .LBB7_35
; %bb.34:
	v_add_co_u32 v29, s12, 0x6000, v1
	s_delay_alu instid0(VALU_DEP_1)
	v_add_co_ci_u32_e64 v30, s12, 0, v2, s12
	global_load_b64 v[29:30], v[29:30], off offset:2048
.LBB7_35:
	s_or_b32 exec_lo, exec_lo, s13
	v_or_b32_e32 v31, 0xe00, v0
	s_delay_alu instid0(VALU_DEP_1) | instskip(NEXT) | instid1(VALU_DEP_1)
	v_cmp_gt_u32_e64 s12, s64, v31
                                        ; implicit-def: $vgpr31_vgpr32
	s_and_saveexec_b32 s14, s12
	s_cbranch_execz .LBB7_37
; %bb.36:
	v_add_co_u32 v31, s13, 0x7000, v1
	s_delay_alu instid0(VALU_DEP_1)
	v_add_co_ci_u32_e64 v32, s13, 0, v2, s13
	global_load_b64 v[31:32], v[31:32], off
.LBB7_37:
	s_or_b32 exec_lo, exec_lo, s14
	v_or_b32_e32 v33, 0xf00, v0
	s_delay_alu instid0(VALU_DEP_1) | instskip(NEXT) | instid1(VALU_DEP_1)
	v_cmp_gt_u32_e64 s13, s64, v33
                                        ; implicit-def: $vgpr33_vgpr34
	s_and_saveexec_b32 s15, s13
	s_cbranch_execz .LBB7_39
; %bb.38:
	v_add_co_u32 v33, s14, 0x7000, v1
	s_delay_alu instid0(VALU_DEP_1)
	v_add_co_ci_u32_e64 v34, s14, 0, v2, s14
	global_load_b64 v[33:34], v[33:34], off offset:2048
.LBB7_39:
	s_or_b32 exec_lo, exec_lo, s15
	v_or_b32_e32 v35, 0x1000, v0
	s_delay_alu instid0(VALU_DEP_1) | instskip(NEXT) | instid1(VALU_DEP_1)
	v_cmp_gt_u32_e64 s14, s64, v35
                                        ; implicit-def: $vgpr35_vgpr36
	s_and_saveexec_b32 s16, s14
	s_cbranch_execz .LBB7_41
; %bb.40:
	v_add_co_u32 v35, s15, 0x8000, v1
	s_delay_alu instid0(VALU_DEP_1)
	v_add_co_ci_u32_e64 v36, s15, 0, v2, s15
	global_load_b64 v[35:36], v[35:36], off
.LBB7_41:
	s_or_b32 exec_lo, exec_lo, s16
	v_or_b32_e32 v37, 0x1100, v0
	s_delay_alu instid0(VALU_DEP_1) | instskip(NEXT) | instid1(VALU_DEP_1)
	v_cmp_gt_u32_e64 s15, s64, v37
                                        ; implicit-def: $vgpr37_vgpr38
	s_and_saveexec_b32 s17, s15
	s_cbranch_execz .LBB7_43
; %bb.42:
	v_add_co_u32 v37, s16, 0x8000, v1
	s_delay_alu instid0(VALU_DEP_1)
	v_add_co_ci_u32_e64 v38, s16, 0, v2, s16
	global_load_b64 v[37:38], v[37:38], off offset:2048
.LBB7_43:
	s_or_b32 exec_lo, exec_lo, s17
	v_or_b32_e32 v39, 0x1200, v0
	s_delay_alu instid0(VALU_DEP_1) | instskip(NEXT) | instid1(VALU_DEP_1)
	v_cmp_gt_u32_e64 s16, s64, v39
                                        ; implicit-def: $vgpr39_vgpr40
	s_and_saveexec_b32 s18, s16
	s_cbranch_execz .LBB7_45
; %bb.44:
	v_add_co_u32 v39, s17, 0x9000, v1
	s_delay_alu instid0(VALU_DEP_1)
	v_add_co_ci_u32_e64 v40, s17, 0, v2, s17
	global_load_b64 v[39:40], v[39:40], off
.LBB7_45:
	s_or_b32 exec_lo, exec_lo, s18
	v_or_b32_e32 v41, 0x1300, v0
	s_delay_alu instid0(VALU_DEP_1) | instskip(NEXT) | instid1(VALU_DEP_1)
	v_cmp_gt_u32_e64 s17, s64, v41
                                        ; implicit-def: $vgpr41_vgpr42
	s_and_saveexec_b32 s19, s17
	s_cbranch_execz .LBB7_47
; %bb.46:
	v_add_co_u32 v41, s18, 0x9000, v1
	s_delay_alu instid0(VALU_DEP_1)
	v_add_co_ci_u32_e64 v42, s18, 0, v2, s18
	global_load_b64 v[41:42], v[41:42], off offset:2048
.LBB7_47:
	s_or_b32 exec_lo, exec_lo, s19
	v_or_b32_e32 v43, 0x1400, v0
	s_delay_alu instid0(VALU_DEP_1) | instskip(NEXT) | instid1(VALU_DEP_1)
	v_cmp_gt_u32_e64 s18, s64, v43
                                        ; implicit-def: $vgpr43_vgpr44
	s_and_saveexec_b32 s20, s18
	s_cbranch_execz .LBB7_49
; %bb.48:
	v_add_co_u32 v43, s19, 0xa000, v1
	s_delay_alu instid0(VALU_DEP_1)
	v_add_co_ci_u32_e64 v44, s19, 0, v2, s19
	global_load_b64 v[43:44], v[43:44], off
.LBB7_49:
	s_or_b32 exec_lo, exec_lo, s20
	v_or_b32_e32 v45, 0x1500, v0
	s_delay_alu instid0(VALU_DEP_1) | instskip(NEXT) | instid1(VALU_DEP_1)
	v_cmp_gt_u32_e64 s19, s64, v45
                                        ; implicit-def: $vgpr45_vgpr46
	s_and_saveexec_b32 s21, s19
	s_cbranch_execz .LBB7_51
; %bb.50:
	v_add_co_u32 v45, s20, 0xa000, v1
	s_delay_alu instid0(VALU_DEP_1)
	v_add_co_ci_u32_e64 v46, s20, 0, v2, s20
	global_load_b64 v[45:46], v[45:46], off offset:2048
.LBB7_51:
	s_or_b32 exec_lo, exec_lo, s21
	v_or_b32_e32 v47, 0x1600, v0
	s_delay_alu instid0(VALU_DEP_1) | instskip(NEXT) | instid1(VALU_DEP_1)
	v_cmp_gt_u32_e64 s20, s64, v47
                                        ; implicit-def: $vgpr47_vgpr48
	s_and_saveexec_b32 s22, s20
	s_cbranch_execz .LBB7_53
; %bb.52:
	v_add_co_u32 v47, s21, 0xb000, v1
	s_delay_alu instid0(VALU_DEP_1)
	v_add_co_ci_u32_e64 v48, s21, 0, v2, s21
	global_load_b64 v[47:48], v[47:48], off
.LBB7_53:
	s_or_b32 exec_lo, exec_lo, s22
	v_or_b32_e32 v49, 0x1700, v0
	s_delay_alu instid0(VALU_DEP_1) | instskip(NEXT) | instid1(VALU_DEP_1)
	v_cmp_gt_u32_e64 s21, s64, v49
                                        ; implicit-def: $vgpr49_vgpr50
	s_and_saveexec_b32 s23, s21
	s_cbranch_execz .LBB7_55
; %bb.54:
	v_add_co_u32 v49, s22, 0xb000, v1
	s_delay_alu instid0(VALU_DEP_1)
	v_add_co_ci_u32_e64 v50, s22, 0, v2, s22
	global_load_b64 v[49:50], v[49:50], off offset:2048
.LBB7_55:
	s_or_b32 exec_lo, exec_lo, s23
	v_or_b32_e32 v51, 0x1800, v0
	s_delay_alu instid0(VALU_DEP_1) | instskip(NEXT) | instid1(VALU_DEP_1)
	v_cmp_gt_u32_e64 s22, s64, v51
                                        ; implicit-def: $vgpr51_vgpr52
	s_and_saveexec_b32 s24, s22
	s_cbranch_execz .LBB7_57
; %bb.56:
	v_add_co_u32 v51, s23, 0xc000, v1
	s_delay_alu instid0(VALU_DEP_1)
	v_add_co_ci_u32_e64 v52, s23, 0, v2, s23
	global_load_b64 v[51:52], v[51:52], off
.LBB7_57:
	s_or_b32 exec_lo, exec_lo, s24
	v_or_b32_e32 v53, 0x1900, v0
	s_delay_alu instid0(VALU_DEP_1) | instskip(NEXT) | instid1(VALU_DEP_1)
	v_cmp_gt_u32_e64 s23, s64, v53
                                        ; implicit-def: $vgpr53_vgpr54
	s_and_saveexec_b32 s25, s23
	s_cbranch_execz .LBB7_59
; %bb.58:
	v_add_co_u32 v53, s24, 0xc000, v1
	s_delay_alu instid0(VALU_DEP_1)
	v_add_co_ci_u32_e64 v54, s24, 0, v2, s24
	global_load_b64 v[53:54], v[53:54], off offset:2048
.LBB7_59:
	s_or_b32 exec_lo, exec_lo, s25
	v_or_b32_e32 v55, 0x1a00, v0
	s_delay_alu instid0(VALU_DEP_1) | instskip(NEXT) | instid1(VALU_DEP_1)
	v_cmp_gt_u32_e64 s24, s64, v55
                                        ; implicit-def: $vgpr55_vgpr56
	s_and_saveexec_b32 s26, s24
	s_cbranch_execz .LBB7_61
; %bb.60:
	v_add_co_u32 v55, s25, 0xd000, v1
	s_delay_alu instid0(VALU_DEP_1)
	v_add_co_ci_u32_e64 v56, s25, 0, v2, s25
	global_load_b64 v[55:56], v[55:56], off
.LBB7_61:
	s_or_b32 exec_lo, exec_lo, s26
	v_or_b32_e32 v57, 0x1b00, v0
	s_delay_alu instid0(VALU_DEP_1) | instskip(NEXT) | instid1(VALU_DEP_1)
	v_cmp_gt_u32_e64 s25, s64, v57
                                        ; implicit-def: $vgpr57_vgpr58
	s_and_saveexec_b32 s27, s25
	s_cbranch_execz .LBB7_63
; %bb.62:
	v_add_co_u32 v57, s26, 0xd000, v1
	s_delay_alu instid0(VALU_DEP_1)
	v_add_co_ci_u32_e64 v58, s26, 0, v2, s26
	global_load_b64 v[57:58], v[57:58], off offset:2048
.LBB7_63:
	s_or_b32 exec_lo, exec_lo, s27
	v_or_b32_e32 v59, 0x1c00, v0
	s_delay_alu instid0(VALU_DEP_1) | instskip(NEXT) | instid1(VALU_DEP_1)
	v_cmp_gt_u32_e64 s26, s64, v59
                                        ; implicit-def: $vgpr59_vgpr60
	s_and_saveexec_b32 s28, s26
	s_cbranch_execz .LBB7_65
; %bb.64:
	v_add_co_u32 v59, s27, 0xe000, v1
	s_delay_alu instid0(VALU_DEP_1)
	v_add_co_ci_u32_e64 v60, s27, 0, v2, s27
	global_load_b64 v[59:60], v[59:60], off
.LBB7_65:
	s_or_b32 exec_lo, exec_lo, s28
	v_or_b32_e32 v61, 0x1d00, v0
	s_delay_alu instid0(VALU_DEP_1) | instskip(NEXT) | instid1(VALU_DEP_1)
	v_cmp_gt_u32_e64 s27, s64, v61
                                        ; implicit-def: $vgpr61_vgpr62
	s_and_saveexec_b32 s29, s27
	s_cbranch_execz .LBB7_67
; %bb.66:
	v_add_co_u32 v61, s28, 0xe000, v1
	s_delay_alu instid0(VALU_DEP_1)
	v_add_co_ci_u32_e64 v62, s28, 0, v2, s28
	global_load_b64 v[61:62], v[61:62], off offset:2048
.LBB7_67:
	s_or_b32 exec_lo, exec_lo, s29
	v_or_b32_e32 v63, 0x1e00, v0
	s_delay_alu instid0(VALU_DEP_1) | instskip(NEXT) | instid1(VALU_DEP_1)
	v_cmp_gt_u32_e64 s28, s64, v63
                                        ; implicit-def: $vgpr63_vgpr64
	s_and_saveexec_b32 s30, s28
	s_cbranch_execz .LBB7_69
; %bb.68:
	v_add_co_u32 v63, s29, 0xf000, v1
	s_delay_alu instid0(VALU_DEP_1)
	v_add_co_ci_u32_e64 v64, s29, 0, v2, s29
	global_load_b64 v[63:64], v[63:64], off
.LBB7_69:
	s_or_b32 exec_lo, exec_lo, s30
	v_or_b32_e32 v65, 0x1f00, v0
	s_delay_alu instid0(VALU_DEP_1) | instskip(NEXT) | instid1(VALU_DEP_1)
	v_cmp_gt_u32_e64 s29, s64, v65
                                        ; implicit-def: $vgpr65_vgpr66
	s_and_saveexec_b32 s31, s29
	s_cbranch_execz .LBB7_71
; %bb.70:
	v_add_co_u32 v65, s30, 0xf000, v1
	s_delay_alu instid0(VALU_DEP_1)
	v_add_co_ci_u32_e64 v66, s30, 0, v2, s30
	global_load_b64 v[65:66], v[65:66], off offset:2048
.LBB7_71:
	s_or_b32 exec_lo, exec_lo, s31
	v_or_b32_e32 v67, 0x2000, v0
	s_delay_alu instid0(VALU_DEP_1) | instskip(NEXT) | instid1(VALU_DEP_1)
	v_cmp_gt_u32_e64 s30, s64, v67
                                        ; implicit-def: $vgpr67_vgpr68
	s_and_saveexec_b32 s33, s30
	s_cbranch_execz .LBB7_73
; %bb.72:
	v_add_co_u32 v67, s31, 0x10000, v1
	s_delay_alu instid0(VALU_DEP_1)
	v_add_co_ci_u32_e64 v68, s31, 0, v2, s31
	global_load_b64 v[67:68], v[67:68], off
.LBB7_73:
	s_or_b32 exec_lo, exec_lo, s33
	v_or_b32_e32 v69, 0x2100, v0
	s_delay_alu instid0(VALU_DEP_1) | instskip(NEXT) | instid1(VALU_DEP_1)
	v_cmp_gt_u32_e64 s31, s64, v69
                                        ; implicit-def: $vgpr69_vgpr70
	s_and_saveexec_b32 s34, s31
	s_cbranch_execz .LBB7_75
; %bb.74:
	v_add_co_u32 v69, s33, 0x10000, v1
	s_delay_alu instid0(VALU_DEP_1)
	v_add_co_ci_u32_e64 v70, s33, 0, v2, s33
	global_load_b64 v[69:70], v[69:70], off offset:2048
.LBB7_75:
	s_or_b32 exec_lo, exec_lo, s34
	v_or_b32_e32 v71, 0x2200, v0
	s_delay_alu instid0(VALU_DEP_1) | instskip(NEXT) | instid1(VALU_DEP_1)
	v_cmp_gt_u32_e64 s33, s64, v71
                                        ; implicit-def: $vgpr71_vgpr72
	s_and_saveexec_b32 s35, s33
	s_cbranch_execz .LBB7_77
; %bb.76:
	v_add_co_u32 v71, s34, 0x11000, v1
	s_delay_alu instid0(VALU_DEP_1)
	v_add_co_ci_u32_e64 v72, s34, 0, v2, s34
	global_load_b64 v[71:72], v[71:72], off
.LBB7_77:
	s_or_b32 exec_lo, exec_lo, s35
	v_or_b32_e32 v73, 0x2300, v0
	s_delay_alu instid0(VALU_DEP_1) | instskip(NEXT) | instid1(VALU_DEP_1)
	v_cmp_gt_u32_e64 s34, s64, v73
                                        ; implicit-def: $vgpr73_vgpr74
	s_and_saveexec_b32 s36, s34
	s_cbranch_execz .LBB7_79
; %bb.78:
	v_add_co_u32 v73, s35, 0x11000, v1
	s_delay_alu instid0(VALU_DEP_1)
	v_add_co_ci_u32_e64 v74, s35, 0, v2, s35
	global_load_b64 v[73:74], v[73:74], off offset:2048
.LBB7_79:
	s_or_b32 exec_lo, exec_lo, s36
	v_or_b32_e32 v75, 0x2400, v0
	s_delay_alu instid0(VALU_DEP_1) | instskip(NEXT) | instid1(VALU_DEP_1)
	v_cmp_gt_u32_e64 s35, s64, v75
                                        ; implicit-def: $vgpr75_vgpr76
	s_and_saveexec_b32 s37, s35
	s_cbranch_execz .LBB7_81
; %bb.80:
	v_add_co_u32 v75, s36, 0x12000, v1
	s_delay_alu instid0(VALU_DEP_1)
	v_add_co_ci_u32_e64 v76, s36, 0, v2, s36
	global_load_b64 v[75:76], v[75:76], off
.LBB7_81:
	s_or_b32 exec_lo, exec_lo, s37
	v_or_b32_e32 v77, 0x2500, v0
	s_delay_alu instid0(VALU_DEP_1) | instskip(NEXT) | instid1(VALU_DEP_1)
	v_cmp_gt_u32_e64 s36, s64, v77
                                        ; implicit-def: $vgpr77_vgpr78
	s_and_saveexec_b32 s38, s36
	s_cbranch_execz .LBB7_83
; %bb.82:
	v_add_co_u32 v77, s37, 0x12000, v1
	s_delay_alu instid0(VALU_DEP_1)
	v_add_co_ci_u32_e64 v78, s37, 0, v2, s37
	global_load_b64 v[77:78], v[77:78], off offset:2048
.LBB7_83:
	s_or_b32 exec_lo, exec_lo, s38
	v_or_b32_e32 v79, 0x2600, v0
	s_delay_alu instid0(VALU_DEP_1) | instskip(NEXT) | instid1(VALU_DEP_1)
	v_cmp_gt_u32_e64 s37, s64, v79
                                        ; implicit-def: $vgpr79_vgpr80
	s_and_saveexec_b32 s39, s37
	s_cbranch_execz .LBB7_85
; %bb.84:
	v_add_co_u32 v79, s38, 0x13000, v1
	s_delay_alu instid0(VALU_DEP_1)
	v_add_co_ci_u32_e64 v80, s38, 0, v2, s38
	global_load_b64 v[79:80], v[79:80], off
.LBB7_85:
	s_or_b32 exec_lo, exec_lo, s39
	v_or_b32_e32 v81, 0x2700, v0
	s_delay_alu instid0(VALU_DEP_1) | instskip(NEXT) | instid1(VALU_DEP_1)
	v_cmp_gt_u32_e64 s38, s64, v81
                                        ; implicit-def: $vgpr81_vgpr82
	s_and_saveexec_b32 s40, s38
	s_cbranch_execz .LBB7_87
; %bb.86:
	v_add_co_u32 v81, s39, 0x13000, v1
	s_delay_alu instid0(VALU_DEP_1)
	v_add_co_ci_u32_e64 v82, s39, 0, v2, s39
	global_load_b64 v[81:82], v[81:82], off offset:2048
.LBB7_87:
	s_or_b32 exec_lo, exec_lo, s40
	v_or_b32_e32 v83, 0x2800, v0
	s_delay_alu instid0(VALU_DEP_1) | instskip(NEXT) | instid1(VALU_DEP_1)
	v_cmp_gt_u32_e64 s39, s64, v83
                                        ; implicit-def: $vgpr83_vgpr84
	s_and_saveexec_b32 s41, s39
	s_cbranch_execz .LBB7_89
; %bb.88:
	v_add_co_u32 v83, s40, 0x14000, v1
	s_delay_alu instid0(VALU_DEP_1)
	v_add_co_ci_u32_e64 v84, s40, 0, v2, s40
	global_load_b64 v[83:84], v[83:84], off
.LBB7_89:
	s_or_b32 exec_lo, exec_lo, s41
	v_or_b32_e32 v85, 0x2900, v0
	s_delay_alu instid0(VALU_DEP_1) | instskip(NEXT) | instid1(VALU_DEP_1)
	v_cmp_gt_u32_e64 s40, s64, v85
                                        ; implicit-def: $vgpr85_vgpr86
	s_and_saveexec_b32 s42, s40
	s_cbranch_execz .LBB7_91
; %bb.90:
	v_add_co_u32 v85, s41, 0x14000, v1
	s_delay_alu instid0(VALU_DEP_1)
	v_add_co_ci_u32_e64 v86, s41, 0, v2, s41
	global_load_b64 v[85:86], v[85:86], off offset:2048
.LBB7_91:
	s_or_b32 exec_lo, exec_lo, s42
	v_or_b32_e32 v87, 0x2a00, v0
	s_delay_alu instid0(VALU_DEP_1) | instskip(NEXT) | instid1(VALU_DEP_1)
	v_cmp_gt_u32_e64 s41, s64, v87
                                        ; implicit-def: $vgpr87_vgpr88
	s_and_saveexec_b32 s43, s41
	s_cbranch_execz .LBB7_93
; %bb.92:
	v_add_co_u32 v87, s42, 0x15000, v1
	s_delay_alu instid0(VALU_DEP_1)
	v_add_co_ci_u32_e64 v88, s42, 0, v2, s42
	global_load_b64 v[87:88], v[87:88], off
.LBB7_93:
	s_or_b32 exec_lo, exec_lo, s43
	v_or_b32_e32 v89, 0x2b00, v0
	s_delay_alu instid0(VALU_DEP_1) | instskip(NEXT) | instid1(VALU_DEP_1)
	v_cmp_gt_u32_e64 s42, s64, v89
                                        ; implicit-def: $vgpr89_vgpr90
	s_and_saveexec_b32 s44, s42
	s_cbranch_execz .LBB7_95
; %bb.94:
	v_add_co_u32 v89, s43, 0x15000, v1
	s_delay_alu instid0(VALU_DEP_1)
	v_add_co_ci_u32_e64 v90, s43, 0, v2, s43
	global_load_b64 v[89:90], v[89:90], off offset:2048
.LBB7_95:
	s_or_b32 exec_lo, exec_lo, s44
	v_or_b32_e32 v91, 0x2c00, v0
	s_delay_alu instid0(VALU_DEP_1) | instskip(NEXT) | instid1(VALU_DEP_1)
	v_cmp_gt_u32_e64 s43, s64, v91
                                        ; implicit-def: $vgpr91_vgpr92
	s_and_saveexec_b32 s45, s43
	s_cbranch_execz .LBB7_97
; %bb.96:
	v_add_co_u32 v91, s44, 0x16000, v1
	s_delay_alu instid0(VALU_DEP_1)
	v_add_co_ci_u32_e64 v92, s44, 0, v2, s44
	global_load_b64 v[91:92], v[91:92], off
.LBB7_97:
	s_or_b32 exec_lo, exec_lo, s45
	v_or_b32_e32 v93, 0x2d00, v0
	s_delay_alu instid0(VALU_DEP_1) | instskip(NEXT) | instid1(VALU_DEP_1)
	v_cmp_gt_u32_e64 s44, s64, v93
                                        ; implicit-def: $vgpr93_vgpr94
	s_and_saveexec_b32 s46, s44
	s_cbranch_execz .LBB7_99
; %bb.98:
	v_add_co_u32 v93, s45, 0x16000, v1
	s_delay_alu instid0(VALU_DEP_1)
	v_add_co_ci_u32_e64 v94, s45, 0, v2, s45
	global_load_b64 v[93:94], v[93:94], off offset:2048
.LBB7_99:
	s_or_b32 exec_lo, exec_lo, s46
	v_or_b32_e32 v95, 0x2e00, v0
	s_delay_alu instid0(VALU_DEP_1) | instskip(NEXT) | instid1(VALU_DEP_1)
	v_cmp_gt_u32_e64 s45, s64, v95
                                        ; implicit-def: $vgpr95_vgpr96
	s_and_saveexec_b32 s47, s45
	s_cbranch_execz .LBB7_101
; %bb.100:
	v_add_co_u32 v95, s46, 0x17000, v1
	s_delay_alu instid0(VALU_DEP_1)
	v_add_co_ci_u32_e64 v96, s46, 0, v2, s46
	global_load_b64 v[95:96], v[95:96], off
.LBB7_101:
	s_or_b32 exec_lo, exec_lo, s47
	v_or_b32_e32 v97, 0x2f00, v0
	s_delay_alu instid0(VALU_DEP_1) | instskip(NEXT) | instid1(VALU_DEP_1)
	v_cmp_gt_u32_e64 s46, s64, v97
                                        ; implicit-def: $vgpr97_vgpr98
	s_and_saveexec_b32 s48, s46
	s_cbranch_execz .LBB7_103
; %bb.102:
	v_add_co_u32 v97, s47, 0x17000, v1
	s_delay_alu instid0(VALU_DEP_1)
	v_add_co_ci_u32_e64 v98, s47, 0, v2, s47
	global_load_b64 v[97:98], v[97:98], off offset:2048
.LBB7_103:
	s_or_b32 exec_lo, exec_lo, s48
	v_or_b32_e32 v99, 0x3000, v0
	s_delay_alu instid0(VALU_DEP_1) | instskip(NEXT) | instid1(VALU_DEP_1)
	v_cmp_gt_u32_e64 s47, s64, v99
                                        ; implicit-def: $vgpr99_vgpr100
	s_and_saveexec_b32 s49, s47
	s_cbranch_execz .LBB7_105
; %bb.104:
	v_add_co_u32 v99, s48, 0x18000, v1
	s_delay_alu instid0(VALU_DEP_1)
	v_add_co_ci_u32_e64 v100, s48, 0, v2, s48
	global_load_b64 v[99:100], v[99:100], off
.LBB7_105:
	s_or_b32 exec_lo, exec_lo, s49
	v_or_b32_e32 v101, 0x3100, v0
	s_delay_alu instid0(VALU_DEP_1) | instskip(NEXT) | instid1(VALU_DEP_1)
	v_cmp_gt_u32_e64 s48, s64, v101
                                        ; implicit-def: $vgpr101_vgpr102
	s_and_saveexec_b32 s50, s48
	s_cbranch_execz .LBB7_107
; %bb.106:
	v_add_co_u32 v101, s49, 0x18000, v1
	s_delay_alu instid0(VALU_DEP_1)
	v_add_co_ci_u32_e64 v102, s49, 0, v2, s49
	global_load_b64 v[101:102], v[101:102], off offset:2048
.LBB7_107:
	s_or_b32 exec_lo, exec_lo, s50
	v_or_b32_e32 v103, 0x3200, v0
	s_delay_alu instid0(VALU_DEP_1) | instskip(NEXT) | instid1(VALU_DEP_1)
	v_cmp_gt_u32_e64 s49, s64, v103
                                        ; implicit-def: $vgpr103_vgpr104
	s_and_saveexec_b32 s51, s49
	s_cbranch_execz .LBB7_109
; %bb.108:
	v_add_co_u32 v103, s50, 0x19000, v1
	s_delay_alu instid0(VALU_DEP_1)
	v_add_co_ci_u32_e64 v104, s50, 0, v2, s50
	global_load_b64 v[103:104], v[103:104], off
.LBB7_109:
	s_or_b32 exec_lo, exec_lo, s51
	v_or_b32_e32 v105, 0x3300, v0
	s_delay_alu instid0(VALU_DEP_1) | instskip(NEXT) | instid1(VALU_DEP_1)
	v_cmp_gt_u32_e64 s50, s64, v105
                                        ; implicit-def: $vgpr105_vgpr106
	s_and_saveexec_b32 s52, s50
	s_cbranch_execz .LBB7_111
; %bb.110:
	v_add_co_u32 v105, s51, 0x19000, v1
	s_delay_alu instid0(VALU_DEP_1)
	v_add_co_ci_u32_e64 v106, s51, 0, v2, s51
	global_load_b64 v[105:106], v[105:106], off offset:2048
.LBB7_111:
	s_or_b32 exec_lo, exec_lo, s52
	v_or_b32_e32 v107, 0x3400, v0
	s_delay_alu instid0(VALU_DEP_1) | instskip(NEXT) | instid1(VALU_DEP_1)
	v_cmp_gt_u32_e64 s51, s64, v107
                                        ; implicit-def: $vgpr107_vgpr108
	s_and_saveexec_b32 s53, s51
	s_cbranch_execz .LBB7_113
; %bb.112:
	v_add_co_u32 v107, s52, 0x1a000, v1
	s_delay_alu instid0(VALU_DEP_1)
	v_add_co_ci_u32_e64 v108, s52, 0, v2, s52
	global_load_b64 v[107:108], v[107:108], off
.LBB7_113:
	s_or_b32 exec_lo, exec_lo, s53
	v_or_b32_e32 v109, 0x3500, v0
	s_delay_alu instid0(VALU_DEP_1) | instskip(NEXT) | instid1(VALU_DEP_1)
	v_cmp_gt_u32_e64 s52, s64, v109
                                        ; implicit-def: $vgpr109_vgpr110
	s_and_saveexec_b32 s54, s52
	s_cbranch_execz .LBB7_115
; %bb.114:
	v_add_co_u32 v109, s53, 0x1a000, v1
	s_delay_alu instid0(VALU_DEP_1)
	v_add_co_ci_u32_e64 v110, s53, 0, v2, s53
	global_load_b64 v[109:110], v[109:110], off offset:2048
.LBB7_115:
	s_or_b32 exec_lo, exec_lo, s54
	v_or_b32_e32 v111, 0x3600, v0
	s_delay_alu instid0(VALU_DEP_1) | instskip(NEXT) | instid1(VALU_DEP_1)
	v_cmp_gt_u32_e64 s53, s64, v111
                                        ; implicit-def: $vgpr111_vgpr112
	s_and_saveexec_b32 s55, s53
	s_cbranch_execz .LBB7_117
; %bb.116:
	v_add_co_u32 v111, s54, 0x1b000, v1
	s_delay_alu instid0(VALU_DEP_1)
	v_add_co_ci_u32_e64 v112, s54, 0, v2, s54
	global_load_b64 v[111:112], v[111:112], off
.LBB7_117:
	s_or_b32 exec_lo, exec_lo, s55
	v_or_b32_e32 v113, 0x3700, v0
	s_delay_alu instid0(VALU_DEP_1) | instskip(NEXT) | instid1(VALU_DEP_1)
	v_cmp_gt_u32_e64 s54, s64, v113
                                        ; implicit-def: $vgpr113_vgpr114
	s_and_saveexec_b32 s56, s54
	s_cbranch_execz .LBB7_119
; %bb.118:
	v_add_co_u32 v113, s55, 0x1b000, v1
	s_delay_alu instid0(VALU_DEP_1)
	v_add_co_ci_u32_e64 v114, s55, 0, v2, s55
	global_load_b64 v[113:114], v[113:114], off offset:2048
.LBB7_119:
	s_or_b32 exec_lo, exec_lo, s56
	v_or_b32_e32 v115, 0x3800, v0
	s_delay_alu instid0(VALU_DEP_1) | instskip(NEXT) | instid1(VALU_DEP_1)
	v_cmp_gt_u32_e64 s55, s64, v115
                                        ; implicit-def: $vgpr115_vgpr116
	s_and_saveexec_b32 s57, s55
	s_cbranch_execz .LBB7_121
; %bb.120:
	v_add_co_u32 v115, s56, 0x1c000, v1
	s_delay_alu instid0(VALU_DEP_1)
	v_add_co_ci_u32_e64 v116, s56, 0, v2, s56
	global_load_b64 v[115:116], v[115:116], off
.LBB7_121:
	s_or_b32 exec_lo, exec_lo, s57
	v_or_b32_e32 v117, 0x3900, v0
	s_delay_alu instid0(VALU_DEP_1) | instskip(NEXT) | instid1(VALU_DEP_1)
	v_cmp_gt_u32_e64 s56, s64, v117
                                        ; implicit-def: $vgpr117_vgpr118
	s_and_saveexec_b32 s58, s56
	s_cbranch_execz .LBB7_123
; %bb.122:
	v_add_co_u32 v117, s57, 0x1c000, v1
	s_delay_alu instid0(VALU_DEP_1)
	v_add_co_ci_u32_e64 v118, s57, 0, v2, s57
	global_load_b64 v[117:118], v[117:118], off offset:2048
.LBB7_123:
	s_or_b32 exec_lo, exec_lo, s58
	v_or_b32_e32 v119, 0x3a00, v0
	s_delay_alu instid0(VALU_DEP_1) | instskip(NEXT) | instid1(VALU_DEP_1)
	v_cmp_gt_u32_e64 s57, s64, v119
                                        ; implicit-def: $vgpr119_vgpr120
	s_and_saveexec_b32 s59, s57
	s_cbranch_execz .LBB7_125
; %bb.124:
	v_add_co_u32 v119, s58, 0x1d000, v1
	s_delay_alu instid0(VALU_DEP_1)
	v_add_co_ci_u32_e64 v120, s58, 0, v2, s58
	global_load_b64 v[119:120], v[119:120], off
.LBB7_125:
	s_or_b32 exec_lo, exec_lo, s59
	v_or_b32_e32 v121, 0x3b00, v0
	s_delay_alu instid0(VALU_DEP_1) | instskip(NEXT) | instid1(VALU_DEP_1)
	v_cmp_gt_u32_e64 s58, s64, v121
                                        ; implicit-def: $vgpr121_vgpr122
	s_and_saveexec_b32 s60, s58
	s_cbranch_execz .LBB7_127
; %bb.126:
	v_add_co_u32 v121, s59, 0x1d000, v1
	s_delay_alu instid0(VALU_DEP_1)
	v_add_co_ci_u32_e64 v122, s59, 0, v2, s59
	global_load_b64 v[121:122], v[121:122], off offset:2048
.LBB7_127:
	s_or_b32 exec_lo, exec_lo, s60
	v_or_b32_e32 v123, 0x3c00, v0
	s_delay_alu instid0(VALU_DEP_1) | instskip(NEXT) | instid1(VALU_DEP_1)
	v_cmp_gt_u32_e64 s59, s64, v123
                                        ; implicit-def: $vgpr123_vgpr124
	s_and_saveexec_b32 s61, s59
	s_cbranch_execz .LBB7_129
; %bb.128:
	v_add_co_u32 v123, s60, 0x1e000, v1
	s_delay_alu instid0(VALU_DEP_1)
	v_add_co_ci_u32_e64 v124, s60, 0, v2, s60
	global_load_b64 v[123:124], v[123:124], off
.LBB7_129:
	s_or_b32 exec_lo, exec_lo, s61
	v_or_b32_e32 v125, 0x3d00, v0
	s_delay_alu instid0(VALU_DEP_1) | instskip(NEXT) | instid1(VALU_DEP_1)
	v_cmp_gt_u32_e64 s60, s64, v125
                                        ; implicit-def: $vgpr125_vgpr126
	s_and_saveexec_b32 s62, s60
	s_cbranch_execz .LBB7_131
; %bb.130:
	v_add_co_u32 v125, s61, 0x1e000, v1
	s_delay_alu instid0(VALU_DEP_1)
	v_add_co_ci_u32_e64 v126, s61, 0, v2, s61
	global_load_b64 v[125:126], v[125:126], off offset:2048
.LBB7_131:
	s_or_b32 exec_lo, exec_lo, s62
	v_or_b32_e32 v127, 0x3e00, v0
	s_delay_alu instid0(VALU_DEP_1) | instskip(NEXT) | instid1(VALU_DEP_1)
	v_cmp_gt_u32_e64 s61, s64, v127
                                        ; implicit-def: $vgpr127_vgpr128
	s_and_saveexec_b32 s63, s61
	s_cbranch_execz .LBB7_133
; %bb.132:
	v_add_co_u32 v127, s62, 0x1f000, v1
	s_delay_alu instid0(VALU_DEP_1)
	v_add_co_ci_u32_e64 v128, s62, 0, v2, s62
	global_load_b64 v[127:128], v[127:128], off
.LBB7_133:
	s_or_b32 exec_lo, exec_lo, s63
	v_or_b32_e32 v129, 0x3f00, v0
	s_delay_alu instid0(VALU_DEP_1) | instskip(NEXT) | instid1(VALU_DEP_1)
	v_cmp_gt_u32_e64 s62, s64, v129
                                        ; implicit-def: $vgpr129_vgpr130
	s_and_saveexec_b32 s65, s62
	s_cbranch_execz .LBB7_135
; %bb.134:
	v_add_co_u32 v1, s63, 0x1f000, v1
	s_delay_alu instid0(VALU_DEP_1)
	v_add_co_ci_u32_e64 v2, s63, 0, v2, s63
	global_load_b64 v[129:130], v[1:2], off offset:2048
.LBB7_135:
	s_or_b32 exec_lo, exec_lo, s65
	s_waitcnt vmcnt(0)
	v_add_f64 v[1:2], v[3:4], v[5:6]
	v_add_nc_u32_e32 v6, 1, v131
	s_delay_alu instid0(VALU_DEP_2) | instskip(SKIP_1) | instid1(VALU_DEP_2)
	v_dual_cndmask_b32 v2, v4, v2 :: v_dual_cndmask_b32 v1, v3, v1
	v_cmp_ne_u32_e32 vcc_lo, 31, v131
	v_add_f64 v[3:4], v[1:2], v[7:8]
	v_add_co_ci_u32_e32 v5, vcc_lo, 0, v131, vcc_lo
	s_delay_alu instid0(VALU_DEP_1) | instskip(NEXT) | instid1(VALU_DEP_3)
	v_lshlrev_b32_e32 v5, 2, v5
	v_cndmask_b32_e64 v2, v2, v4, s0
	s_delay_alu instid0(VALU_DEP_4) | instskip(SKIP_1) | instid1(VALU_DEP_1)
	v_cndmask_b32_e64 v1, v1, v3, s0
	s_min_u32 s0, s64, 0x100
	v_add_f64 v[3:4], v[1:2], v[9:10]
	s_delay_alu instid0(VALU_DEP_1) | instskip(NEXT) | instid1(VALU_DEP_2)
	v_cndmask_b32_e64 v2, v2, v4, s1
	v_cndmask_b32_e64 v1, v1, v3, s1
	s_mov_b32 s1, exec_lo
	s_delay_alu instid0(VALU_DEP_1) | instskip(NEXT) | instid1(VALU_DEP_1)
	v_add_f64 v[3:4], v[1:2], v[11:12]
	v_cndmask_b32_e64 v2, v2, v4, s2
	s_delay_alu instid0(VALU_DEP_2) | instskip(NEXT) | instid1(VALU_DEP_1)
	v_cndmask_b32_e64 v1, v1, v3, s2
	v_add_f64 v[3:4], v[1:2], v[13:14]
	s_delay_alu instid0(VALU_DEP_1) | instskip(NEXT) | instid1(VALU_DEP_2)
	v_cndmask_b32_e64 v2, v2, v4, s3
	v_cndmask_b32_e64 v1, v1, v3, s3
	s_delay_alu instid0(VALU_DEP_1) | instskip(NEXT) | instid1(VALU_DEP_1)
	v_add_f64 v[3:4], v[1:2], v[15:16]
	v_cndmask_b32_e64 v2, v2, v4, s4
	s_delay_alu instid0(VALU_DEP_2) | instskip(NEXT) | instid1(VALU_DEP_1)
	v_cndmask_b32_e64 v1, v1, v3, s4
	v_add_f64 v[3:4], v[1:2], v[17:18]
	s_delay_alu instid0(VALU_DEP_1) | instskip(NEXT) | instid1(VALU_DEP_2)
	v_cndmask_b32_e64 v2, v2, v4, s5
	v_cndmask_b32_e64 v1, v1, v3, s5
	;; [unrolled: 9-line block ×30, first 2 shown]
	ds_bpermute_b32 v1, v5, v3
	ds_bpermute_b32 v2, v5, v4
	v_and_b32_e32 v5, 0xe0, v0
	s_delay_alu instid0(VALU_DEP_1) | instskip(NEXT) | instid1(VALU_DEP_1)
	v_sub_nc_u32_e64 v5, s0, v5 clamp
	v_cmpx_lt_u32_e64 v6, v5
	s_cbranch_execz .LBB7_137
; %bb.136:
	s_waitcnt lgkmcnt(0)
	v_add_f64 v[3:4], v[3:4], v[1:2]
.LBB7_137:
	s_or_b32 exec_lo, exec_lo, s1
	v_cmp_gt_u32_e32 vcc_lo, 30, v131
	v_add_nc_u32_e32 v6, 2, v131
	s_mov_b32 s1, exec_lo
	s_waitcnt lgkmcnt(1)
	v_cndmask_b32_e64 v1, 0, 1, vcc_lo
	s_delay_alu instid0(VALU_DEP_1) | instskip(SKIP_1) | instid1(VALU_DEP_1)
	v_lshlrev_b32_e32 v1, 1, v1
	s_waitcnt lgkmcnt(0)
	v_add_lshl_u32 v2, v1, v131, 2
	ds_bpermute_b32 v1, v2, v3
	ds_bpermute_b32 v2, v2, v4
	v_cmpx_lt_u32_e64 v6, v5
	s_cbranch_execz .LBB7_139
; %bb.138:
	s_waitcnt lgkmcnt(0)
	v_add_f64 v[3:4], v[3:4], v[1:2]
.LBB7_139:
	s_or_b32 exec_lo, exec_lo, s1
	v_cmp_gt_u32_e32 vcc_lo, 28, v131
	v_add_nc_u32_e32 v6, 4, v131
	s_mov_b32 s1, exec_lo
	s_waitcnt lgkmcnt(1)
	v_cndmask_b32_e64 v1, 0, 1, vcc_lo
	s_delay_alu instid0(VALU_DEP_1) | instskip(SKIP_1) | instid1(VALU_DEP_1)
	v_lshlrev_b32_e32 v1, 2, v1
	s_waitcnt lgkmcnt(0)
	v_add_lshl_u32 v2, v1, v131, 2
	ds_bpermute_b32 v1, v2, v3
	ds_bpermute_b32 v2, v2, v4
	;; [unrolled: 18-line block ×4, first 2 shown]
	v_cmpx_lt_u32_e64 v6, v5
	s_cbranch_execz .LBB7_145
; %bb.144:
	s_waitcnt lgkmcnt(0)
	v_add_f64 v[3:4], v[3:4], v[1:2]
.LBB7_145:
	s_or_b32 exec_lo, exec_lo, s1
	s_delay_alu instid0(SALU_CYCLE_1)
	s_mov_b32 s1, exec_lo
	v_cmpx_eq_u32_e32 0, v131
	s_cbranch_execz .LBB7_147
; %bb.146:
	s_waitcnt lgkmcnt(1)
	v_lshrrev_b32_e32 v1, 2, v0
	s_delay_alu instid0(VALU_DEP_1)
	v_and_b32_e32 v1, 56, v1
	ds_store_b64 v1, v[3:4] offset:64
.LBB7_147:
	s_or_b32 exec_lo, exec_lo, s1
	s_delay_alu instid0(SALU_CYCLE_1)
	s_mov_b32 s1, exec_lo
	s_waitcnt lgkmcnt(0)
	s_barrier
	buffer_gl0_inv
	v_cmpx_gt_u32_e32 8, v0
	s_cbranch_execz .LBB7_155
; %bb.148:
	v_lshlrev_b32_e32 v1, 3, v131
	v_and_b32_e32 v5, 7, v131
	s_add_i32 s0, s0, 31
	s_mov_b32 s2, exec_lo
	s_lshr_b32 s0, s0, 5
	ds_load_b64 v[3:4], v1 offset:64
	v_cmp_ne_u32_e32 vcc_lo, 7, v5
	v_add_nc_u32_e32 v6, 1, v5
	v_add_co_ci_u32_e32 v1, vcc_lo, 0, v131, vcc_lo
	s_delay_alu instid0(VALU_DEP_1)
	v_lshlrev_b32_e32 v2, 2, v1
	s_waitcnt lgkmcnt(0)
	ds_bpermute_b32 v1, v2, v3
	ds_bpermute_b32 v2, v2, v4
	v_cmpx_gt_u32_e64 s0, v6
	s_cbranch_execz .LBB7_150
; %bb.149:
	s_waitcnt lgkmcnt(0)
	v_add_f64 v[3:4], v[3:4], v[1:2]
.LBB7_150:
	s_or_b32 exec_lo, exec_lo, s2
	v_cmp_gt_u32_e32 vcc_lo, 6, v5
	v_add_nc_u32_e32 v6, 2, v5
	s_mov_b32 s2, exec_lo
	s_waitcnt lgkmcnt(1)
	v_cndmask_b32_e64 v1, 0, 1, vcc_lo
	s_delay_alu instid0(VALU_DEP_1) | instskip(SKIP_1) | instid1(VALU_DEP_1)
	v_lshlrev_b32_e32 v1, 1, v1
	s_waitcnt lgkmcnt(0)
	v_add_lshl_u32 v2, v1, v131, 2
	ds_bpermute_b32 v1, v2, v3
	ds_bpermute_b32 v2, v2, v4
	v_cmpx_gt_u32_e64 s0, v6
	s_cbranch_execz .LBB7_152
; %bb.151:
	s_waitcnt lgkmcnt(0)
	v_add_f64 v[3:4], v[3:4], v[1:2]
.LBB7_152:
	s_or_b32 exec_lo, exec_lo, s2
	v_cmp_gt_u32_e32 vcc_lo, 4, v5
	v_add_nc_u32_e32 v5, 4, v5
	s_waitcnt lgkmcnt(1)
	v_cndmask_b32_e64 v1, 0, 1, vcc_lo
	s_delay_alu instid0(VALU_DEP_2) | instskip(NEXT) | instid1(VALU_DEP_2)
	v_cmp_gt_u32_e32 vcc_lo, s0, v5
	v_lshlrev_b32_e32 v1, 2, v1
	s_waitcnt lgkmcnt(0)
	s_delay_alu instid0(VALU_DEP_1)
	v_add_lshl_u32 v2, v1, v131, 2
	ds_bpermute_b32 v1, v2, v3
	ds_bpermute_b32 v2, v2, v4
	s_and_saveexec_b32 s0, vcc_lo
	s_cbranch_execz .LBB7_154
; %bb.153:
	s_waitcnt lgkmcnt(0)
	v_add_f64 v[3:4], v[3:4], v[1:2]
.LBB7_154:
	s_or_b32 exec_lo, exec_lo, s0
.LBB7_155:
	s_delay_alu instid0(SALU_CYCLE_1)
	s_or_b32 exec_lo, exec_lo, s1
.LBB7_156:
	s_delay_alu instid0(SALU_CYCLE_1)
	s_mov_b32 s0, exec_lo
	v_cmpx_eq_u32_e32 0, v0
	s_cbranch_execz .LBB7_158
; %bb.157:
	s_waitcnt lgkmcnt(1)
	s_delay_alu instid0(VALU_DEP_2)
	v_add_f64 v[0:1], v[3:4], s[70:71]
	s_lshl_b64 s[0:1], s[72:73], 3
	s_waitcnt lgkmcnt(0)
	v_mov_b32_e32 v2, 0
	s_add_u32 s0, s68, s0
	s_addc_u32 s1, s69, s1
	s_cmp_eq_u64 s[66:67], 0
	s_cselect_b32 s2, -1, 0
	s_delay_alu instid0(VALU_DEP_2) | instid1(SALU_CYCLE_1)
	v_cndmask_b32_e64 v1, v1, s71, s2
	s_delay_alu instid0(VALU_DEP_3)
	v_cndmask_b32_e64 v0, v0, s70, s2
	global_store_b64 v2, v[0:1], s[0:1]
.LBB7_158:
	s_nop 0
	s_sendmsg sendmsg(MSG_DEALLOC_VGPRS)
	s_endpgm
	.section	.rodata,"a",@progbits
	.p2align	6, 0x0
	.amdhsa_kernel _ZN7rocprim6detail19block_reduce_kernelILb1ELb1ELj16ENS0_21wrapped_reduce_configINS_14default_configEdEEdPdS5_dN6thrust4plusIdEEEEvT4_mT5_T6_T7_
		.amdhsa_group_segment_fixed_size 128
		.amdhsa_private_segment_fixed_size 0
		.amdhsa_kernarg_size 36
		.amdhsa_user_sgpr_count 15
		.amdhsa_user_sgpr_dispatch_ptr 0
		.amdhsa_user_sgpr_queue_ptr 0
		.amdhsa_user_sgpr_kernarg_segment_ptr 1
		.amdhsa_user_sgpr_dispatch_id 0
		.amdhsa_user_sgpr_private_segment_size 0
		.amdhsa_wavefront_size32 1
		.amdhsa_uses_dynamic_stack 0
		.amdhsa_enable_private_segment 0
		.amdhsa_system_sgpr_workgroup_id_x 1
		.amdhsa_system_sgpr_workgroup_id_y 0
		.amdhsa_system_sgpr_workgroup_id_z 0
		.amdhsa_system_sgpr_workgroup_info 0
		.amdhsa_system_vgpr_workitem_id 0
		.amdhsa_next_free_vgpr 132
		.amdhsa_next_free_sgpr 74
		.amdhsa_reserve_vcc 1
		.amdhsa_float_round_mode_32 0
		.amdhsa_float_round_mode_16_64 0
		.amdhsa_float_denorm_mode_32 3
		.amdhsa_float_denorm_mode_16_64 3
		.amdhsa_dx10_clamp 1
		.amdhsa_ieee_mode 1
		.amdhsa_fp16_overflow 0
		.amdhsa_workgroup_processor_mode 1
		.amdhsa_memory_ordered 1
		.amdhsa_forward_progress 0
		.amdhsa_shared_vgpr_count 0
		.amdhsa_exception_fp_ieee_invalid_op 0
		.amdhsa_exception_fp_denorm_src 0
		.amdhsa_exception_fp_ieee_div_zero 0
		.amdhsa_exception_fp_ieee_overflow 0
		.amdhsa_exception_fp_ieee_underflow 0
		.amdhsa_exception_fp_ieee_inexact 0
		.amdhsa_exception_int_div_zero 0
	.end_amdhsa_kernel
	.section	.text._ZN7rocprim6detail19block_reduce_kernelILb1ELb1ELj16ENS0_21wrapped_reduce_configINS_14default_configEdEEdPdS5_dN6thrust4plusIdEEEEvT4_mT5_T6_T7_,"axG",@progbits,_ZN7rocprim6detail19block_reduce_kernelILb1ELb1ELj16ENS0_21wrapped_reduce_configINS_14default_configEdEEdPdS5_dN6thrust4plusIdEEEEvT4_mT5_T6_T7_,comdat
.Lfunc_end7:
	.size	_ZN7rocprim6detail19block_reduce_kernelILb1ELb1ELj16ENS0_21wrapped_reduce_configINS_14default_configEdEEdPdS5_dN6thrust4plusIdEEEEvT4_mT5_T6_T7_, .Lfunc_end7-_ZN7rocprim6detail19block_reduce_kernelILb1ELb1ELj16ENS0_21wrapped_reduce_configINS_14default_configEdEEdPdS5_dN6thrust4plusIdEEEEvT4_mT5_T6_T7_
                                        ; -- End function
	.section	.AMDGPU.csdata,"",@progbits
; Kernel info:
; codeLenInByte = 9332
; NumSgprs: 76
; NumVgprs: 132
; ScratchSize: 0
; MemoryBound: 0
; FloatMode: 240
; IeeeMode: 1
; LDSByteSize: 128 bytes/workgroup (compile time only)
; SGPRBlocks: 9
; VGPRBlocks: 16
; NumSGPRsForWavesPerEU: 76
; NumVGPRsForWavesPerEU: 132
; Occupancy: 10
; WaveLimiterHint : 1
; COMPUTE_PGM_RSRC2:SCRATCH_EN: 0
; COMPUTE_PGM_RSRC2:USER_SGPR: 15
; COMPUTE_PGM_RSRC2:TRAP_HANDLER: 0
; COMPUTE_PGM_RSRC2:TGID_X_EN: 1
; COMPUTE_PGM_RSRC2:TGID_Y_EN: 0
; COMPUTE_PGM_RSRC2:TGID_Z_EN: 0
; COMPUTE_PGM_RSRC2:TIDIG_COMP_CNT: 0
	.section	.text._ZN7rocprim6detail19block_reduce_kernelILb1ELb0ELj16ENS0_21wrapped_reduce_configINS_14default_configEdEEdPdS5_dN6thrust4plusIdEEEEvT4_mT5_T6_T7_,"axG",@progbits,_ZN7rocprim6detail19block_reduce_kernelILb1ELb0ELj16ENS0_21wrapped_reduce_configINS_14default_configEdEEdPdS5_dN6thrust4plusIdEEEEvT4_mT5_T6_T7_,comdat
	.protected	_ZN7rocprim6detail19block_reduce_kernelILb1ELb0ELj16ENS0_21wrapped_reduce_configINS_14default_configEdEEdPdS5_dN6thrust4plusIdEEEEvT4_mT5_T6_T7_ ; -- Begin function _ZN7rocprim6detail19block_reduce_kernelILb1ELb0ELj16ENS0_21wrapped_reduce_configINS_14default_configEdEEdPdS5_dN6thrust4plusIdEEEEvT4_mT5_T6_T7_
	.globl	_ZN7rocprim6detail19block_reduce_kernelILb1ELb0ELj16ENS0_21wrapped_reduce_configINS_14default_configEdEEdPdS5_dN6thrust4plusIdEEEEvT4_mT5_T6_T7_
	.p2align	8
	.type	_ZN7rocprim6detail19block_reduce_kernelILb1ELb0ELj16ENS0_21wrapped_reduce_configINS_14default_configEdEEdPdS5_dN6thrust4plusIdEEEEvT4_mT5_T6_T7_,@function
_ZN7rocprim6detail19block_reduce_kernelILb1ELb0ELj16ENS0_21wrapped_reduce_configINS_14default_configEdEEdPdS5_dN6thrust4plusIdEEEEvT4_mT5_T6_T7_: ; @_ZN7rocprim6detail19block_reduce_kernelILb1ELb0ELj16ENS0_21wrapped_reduce_configINS_14default_configEdEEdPdS5_dN6thrust4plusIdEEEEvT4_mT5_T6_T7_
; %bb.0:
	s_load_b256 s[0:7], s[0:1], 0x0
	s_mov_b32 s11, 0
	v_mbcnt_lo_u32_b32 v5, -1, 0
	s_mov_b32 s8, s15
	s_mov_b32 s9, s11
	s_lshl_b32 s10, s15, 8
	s_waitcnt lgkmcnt(0)
	s_lshr_b64 s[12:13], s[2:3], 8
	s_delay_alu instid0(SALU_CYCLE_1)
	s_cmp_lg_u64 s[12:13], s[8:9]
	s_cbranch_scc0 .LBB8_6
; %bb.1:
	s_lshl_b64 s[12:13], s[10:11], 3
	v_lshlrev_b32_e32 v1, 3, v0
	s_add_u32 s12, s0, s12
	s_addc_u32 s13, s1, s13
	global_load_b64 v[1:2], v1, s[12:13]
	s_mov_b32 s12, exec_lo
	s_waitcnt vmcnt(0)
	v_mov_b32_dpp v3, v1 quad_perm:[1,0,3,2] row_mask:0xf bank_mask:0xf
	v_mov_b32_dpp v4, v2 quad_perm:[1,0,3,2] row_mask:0xf bank_mask:0xf
	s_delay_alu instid0(VALU_DEP_1) | instskip(NEXT) | instid1(VALU_DEP_1)
	v_add_f64 v[1:2], v[1:2], v[3:4]
	v_mov_b32_dpp v3, v1 quad_perm:[2,3,0,1] row_mask:0xf bank_mask:0xf
	s_delay_alu instid0(VALU_DEP_2) | instskip(NEXT) | instid1(VALU_DEP_1)
	v_mov_b32_dpp v4, v2 quad_perm:[2,3,0,1] row_mask:0xf bank_mask:0xf
	v_add_f64 v[1:2], v[1:2], v[3:4]
	s_delay_alu instid0(VALU_DEP_1) | instskip(NEXT) | instid1(VALU_DEP_2)
	v_mov_b32_dpp v3, v1 row_ror:4 row_mask:0xf bank_mask:0xf
	v_mov_b32_dpp v4, v2 row_ror:4 row_mask:0xf bank_mask:0xf
	s_delay_alu instid0(VALU_DEP_1) | instskip(NEXT) | instid1(VALU_DEP_1)
	v_add_f64 v[1:2], v[1:2], v[3:4]
	v_mov_b32_dpp v3, v1 row_ror:8 row_mask:0xf bank_mask:0xf
	s_delay_alu instid0(VALU_DEP_2) | instskip(NEXT) | instid1(VALU_DEP_1)
	v_mov_b32_dpp v4, v2 row_ror:8 row_mask:0xf bank_mask:0xf
	v_add_f64 v[1:2], v[1:2], v[3:4]
	ds_swizzle_b32 v3, v1 offset:swizzle(BROADCAST,32,15)
	ds_swizzle_b32 v4, v2 offset:swizzle(BROADCAST,32,15)
	s_waitcnt lgkmcnt(0)
	v_add_f64 v[1:2], v[1:2], v[3:4]
	v_mov_b32_e32 v3, 0
	ds_bpermute_b32 v1, v3, v1 offset:124
	ds_bpermute_b32 v2, v3, v2 offset:124
	v_cmpx_eq_u32_e32 0, v5
	s_cbranch_execz .LBB8_3
; %bb.2:
	v_lshrrev_b32_e32 v3, 2, v0
	s_delay_alu instid0(VALU_DEP_1)
	v_and_b32_e32 v3, 56, v3
	s_waitcnt lgkmcnt(0)
	ds_store_b64 v3, v[1:2]
.LBB8_3:
	s_or_b32 exec_lo, exec_lo, s12
	s_delay_alu instid0(SALU_CYCLE_1)
	s_mov_b32 s12, exec_lo
	s_waitcnt lgkmcnt(0)
	s_barrier
	buffer_gl0_inv
	v_cmpx_gt_u32_e32 32, v0
	s_cbranch_execz .LBB8_5
; %bb.4:
	v_and_b32_e32 v6, 7, v5
	s_delay_alu instid0(VALU_DEP_1) | instskip(SKIP_4) | instid1(VALU_DEP_2)
	v_lshlrev_b32_e32 v1, 3, v6
	v_cmp_ne_u32_e32 vcc_lo, 7, v6
	ds_load_b64 v[1:2], v1
	v_add_co_ci_u32_e32 v3, vcc_lo, 0, v5, vcc_lo
	v_cmp_gt_u32_e32 vcc_lo, 6, v6
	v_lshlrev_b32_e32 v4, 2, v3
	s_waitcnt lgkmcnt(0)
	ds_bpermute_b32 v3, v4, v1
	ds_bpermute_b32 v4, v4, v2
	s_waitcnt lgkmcnt(0)
	v_add_f64 v[1:2], v[1:2], v[3:4]
	v_cndmask_b32_e64 v3, 0, 1, vcc_lo
	v_cmp_gt_u32_e32 vcc_lo, 4, v6
	s_delay_alu instid0(VALU_DEP_2) | instskip(NEXT) | instid1(VALU_DEP_1)
	v_lshlrev_b32_e32 v3, 1, v3
	v_add_lshl_u32 v4, v3, v5, 2
	ds_bpermute_b32 v3, v4, v1
	ds_bpermute_b32 v4, v4, v2
	s_waitcnt lgkmcnt(0)
	v_add_f64 v[1:2], v[1:2], v[3:4]
	v_cndmask_b32_e64 v3, 0, 1, vcc_lo
	s_delay_alu instid0(VALU_DEP_1) | instskip(NEXT) | instid1(VALU_DEP_1)
	v_lshlrev_b32_e32 v3, 2, v3
	v_add_lshl_u32 v4, v3, v5, 2
	ds_bpermute_b32 v3, v4, v1
	ds_bpermute_b32 v4, v4, v2
	s_waitcnt lgkmcnt(0)
	v_add_f64 v[1:2], v[1:2], v[3:4]
.LBB8_5:
	s_or_b32 exec_lo, exec_lo, s12
	s_branch .LBB8_30
.LBB8_6:
                                        ; implicit-def: $vgpr1_vgpr2
	s_cbranch_execz .LBB8_30
; %bb.7:
	s_sub_i32 s12, s2, s10
	s_mov_b32 s13, exec_lo
                                        ; implicit-def: $vgpr1_vgpr2
	v_cmpx_gt_u32_e64 s12, v0
	s_cbranch_execz .LBB8_9
; %bb.8:
	s_lshl_b64 s[10:11], s[10:11], 3
	v_lshlrev_b32_e32 v1, 3, v0
	s_add_u32 s0, s0, s10
	s_addc_u32 s1, s1, s11
	global_load_b64 v[1:2], v1, s[0:1]
.LBB8_9:
	s_or_b32 exec_lo, exec_lo, s13
	v_cmp_ne_u32_e32 vcc_lo, 31, v5
	v_and_b32_e32 v6, 0xe0, v0
	s_min_u32 s0, s12, 0x100
	v_add_nc_u32_e32 v7, 1, v5
	s_mov_b32 s1, exec_lo
	v_add_co_ci_u32_e32 v3, vcc_lo, 0, v5, vcc_lo
	v_sub_nc_u32_e64 v6, s0, v6 clamp
	s_delay_alu instid0(VALU_DEP_2)
	v_lshlrev_b32_e32 v4, 2, v3
	s_waitcnt vmcnt(0)
	ds_bpermute_b32 v3, v4, v1
	ds_bpermute_b32 v4, v4, v2
	v_cmpx_lt_u32_e64 v7, v6
	s_cbranch_execz .LBB8_11
; %bb.10:
	s_waitcnt lgkmcnt(0)
	v_add_f64 v[1:2], v[1:2], v[3:4]
.LBB8_11:
	s_or_b32 exec_lo, exec_lo, s1
	v_cmp_gt_u32_e32 vcc_lo, 30, v5
	v_add_nc_u32_e32 v7, 2, v5
	s_mov_b32 s1, exec_lo
	s_waitcnt lgkmcnt(1)
	v_cndmask_b32_e64 v3, 0, 1, vcc_lo
	s_delay_alu instid0(VALU_DEP_1) | instskip(SKIP_1) | instid1(VALU_DEP_1)
	v_lshlrev_b32_e32 v3, 1, v3
	s_waitcnt lgkmcnt(0)
	v_add_lshl_u32 v4, v3, v5, 2
	ds_bpermute_b32 v3, v4, v1
	ds_bpermute_b32 v4, v4, v2
	v_cmpx_lt_u32_e64 v7, v6
	s_cbranch_execz .LBB8_13
; %bb.12:
	s_waitcnt lgkmcnt(0)
	v_add_f64 v[1:2], v[1:2], v[3:4]
.LBB8_13:
	s_or_b32 exec_lo, exec_lo, s1
	v_cmp_gt_u32_e32 vcc_lo, 28, v5
	v_add_nc_u32_e32 v7, 4, v5
	s_mov_b32 s1, exec_lo
	s_waitcnt lgkmcnt(1)
	v_cndmask_b32_e64 v3, 0, 1, vcc_lo
	s_delay_alu instid0(VALU_DEP_1) | instskip(SKIP_1) | instid1(VALU_DEP_1)
	v_lshlrev_b32_e32 v3, 2, v3
	s_waitcnt lgkmcnt(0)
	v_add_lshl_u32 v4, v3, v5, 2
	;; [unrolled: 18-line block ×4, first 2 shown]
	ds_bpermute_b32 v3, v4, v1
	ds_bpermute_b32 v4, v4, v2
	v_cmpx_lt_u32_e64 v7, v6
	s_cbranch_execz .LBB8_19
; %bb.18:
	s_waitcnt lgkmcnt(0)
	v_add_f64 v[1:2], v[1:2], v[3:4]
.LBB8_19:
	s_or_b32 exec_lo, exec_lo, s1
	s_delay_alu instid0(SALU_CYCLE_1)
	s_mov_b32 s1, exec_lo
	v_cmpx_eq_u32_e32 0, v5
	s_cbranch_execz .LBB8_21
; %bb.20:
	s_waitcnt lgkmcnt(1)
	v_lshrrev_b32_e32 v3, 2, v0
	s_delay_alu instid0(VALU_DEP_1)
	v_and_b32_e32 v3, 56, v3
	ds_store_b64 v3, v[1:2] offset:64
.LBB8_21:
	s_or_b32 exec_lo, exec_lo, s1
	s_delay_alu instid0(SALU_CYCLE_1)
	s_mov_b32 s1, exec_lo
	s_waitcnt lgkmcnt(0)
	s_barrier
	buffer_gl0_inv
	v_cmpx_gt_u32_e32 8, v0
	s_cbranch_execz .LBB8_29
; %bb.22:
	v_lshlrev_b32_e32 v1, 3, v5
	v_and_b32_e32 v6, 7, v5
	s_add_i32 s0, s0, 31
	s_mov_b32 s10, exec_lo
	s_lshr_b32 s0, s0, 5
	ds_load_b64 v[1:2], v1 offset:64
	v_cmp_ne_u32_e32 vcc_lo, 7, v6
	v_add_nc_u32_e32 v7, 1, v6
	v_add_co_ci_u32_e32 v3, vcc_lo, 0, v5, vcc_lo
	s_delay_alu instid0(VALU_DEP_1)
	v_lshlrev_b32_e32 v4, 2, v3
	s_waitcnt lgkmcnt(0)
	ds_bpermute_b32 v3, v4, v1
	ds_bpermute_b32 v4, v4, v2
	v_cmpx_gt_u32_e64 s0, v7
	s_cbranch_execz .LBB8_24
; %bb.23:
	s_waitcnt lgkmcnt(0)
	v_add_f64 v[1:2], v[1:2], v[3:4]
.LBB8_24:
	s_or_b32 exec_lo, exec_lo, s10
	v_cmp_gt_u32_e32 vcc_lo, 6, v6
	v_add_nc_u32_e32 v7, 2, v6
	s_mov_b32 s10, exec_lo
	s_waitcnt lgkmcnt(1)
	v_cndmask_b32_e64 v3, 0, 1, vcc_lo
	s_delay_alu instid0(VALU_DEP_1) | instskip(SKIP_1) | instid1(VALU_DEP_1)
	v_lshlrev_b32_e32 v3, 1, v3
	s_waitcnt lgkmcnt(0)
	v_add_lshl_u32 v4, v3, v5, 2
	ds_bpermute_b32 v3, v4, v1
	ds_bpermute_b32 v4, v4, v2
	v_cmpx_gt_u32_e64 s0, v7
	s_cbranch_execz .LBB8_26
; %bb.25:
	s_waitcnt lgkmcnt(0)
	v_add_f64 v[1:2], v[1:2], v[3:4]
.LBB8_26:
	s_or_b32 exec_lo, exec_lo, s10
	v_cmp_gt_u32_e32 vcc_lo, 4, v6
	s_waitcnt lgkmcnt(1)
	v_cndmask_b32_e64 v3, 0, 1, vcc_lo
	s_delay_alu instid0(VALU_DEP_1) | instskip(SKIP_1) | instid1(VALU_DEP_1)
	v_lshlrev_b32_e32 v3, 2, v3
	s_waitcnt lgkmcnt(0)
	v_add_lshl_u32 v4, v3, v5, 2
	v_add_nc_u32_e32 v5, 4, v6
	ds_bpermute_b32 v3, v4, v1
	ds_bpermute_b32 v4, v4, v2
	v_cmp_gt_u32_e32 vcc_lo, s0, v5
	s_and_saveexec_b32 s0, vcc_lo
	s_cbranch_execz .LBB8_28
; %bb.27:
	s_waitcnt lgkmcnt(0)
	v_add_f64 v[1:2], v[1:2], v[3:4]
.LBB8_28:
	s_or_b32 exec_lo, exec_lo, s0
.LBB8_29:
	s_delay_alu instid0(SALU_CYCLE_1)
	s_or_b32 exec_lo, exec_lo, s1
.LBB8_30:
	s_delay_alu instid0(SALU_CYCLE_1)
	s_mov_b32 s0, exec_lo
	v_cmpx_eq_u32_e32 0, v0
	s_cbranch_execz .LBB8_32
; %bb.31:
	s_delay_alu instid0(VALU_DEP_2)
	v_add_f64 v[0:1], v[1:2], s[6:7]
	s_lshl_b64 s[0:1], s[8:9], 3
	v_mov_b32_e32 v2, 0
	s_add_u32 s0, s4, s0
	s_addc_u32 s1, s5, s1
	s_cmp_eq_u64 s[2:3], 0
	s_cselect_b32 s2, -1, 0
	s_delay_alu instid0(VALU_DEP_2) | instid1(SALU_CYCLE_1)
	v_cndmask_b32_e64 v1, v1, s7, s2
	s_delay_alu instid0(VALU_DEP_3)
	v_cndmask_b32_e64 v0, v0, s6, s2
	global_store_b64 v2, v[0:1], s[0:1]
.LBB8_32:
	s_nop 0
	s_sendmsg sendmsg(MSG_DEALLOC_VGPRS)
	s_endpgm
	.section	.rodata,"a",@progbits
	.p2align	6, 0x0
	.amdhsa_kernel _ZN7rocprim6detail19block_reduce_kernelILb1ELb0ELj16ENS0_21wrapped_reduce_configINS_14default_configEdEEdPdS5_dN6thrust4plusIdEEEEvT4_mT5_T6_T7_
		.amdhsa_group_segment_fixed_size 128
		.amdhsa_private_segment_fixed_size 0
		.amdhsa_kernarg_size 36
		.amdhsa_user_sgpr_count 15
		.amdhsa_user_sgpr_dispatch_ptr 0
		.amdhsa_user_sgpr_queue_ptr 0
		.amdhsa_user_sgpr_kernarg_segment_ptr 1
		.amdhsa_user_sgpr_dispatch_id 0
		.amdhsa_user_sgpr_private_segment_size 0
		.amdhsa_wavefront_size32 1
		.amdhsa_uses_dynamic_stack 0
		.amdhsa_enable_private_segment 0
		.amdhsa_system_sgpr_workgroup_id_x 1
		.amdhsa_system_sgpr_workgroup_id_y 0
		.amdhsa_system_sgpr_workgroup_id_z 0
		.amdhsa_system_sgpr_workgroup_info 0
		.amdhsa_system_vgpr_workitem_id 0
		.amdhsa_next_free_vgpr 8
		.amdhsa_next_free_sgpr 16
		.amdhsa_reserve_vcc 1
		.amdhsa_float_round_mode_32 0
		.amdhsa_float_round_mode_16_64 0
		.amdhsa_float_denorm_mode_32 3
		.amdhsa_float_denorm_mode_16_64 3
		.amdhsa_dx10_clamp 1
		.amdhsa_ieee_mode 1
		.amdhsa_fp16_overflow 0
		.amdhsa_workgroup_processor_mode 1
		.amdhsa_memory_ordered 1
		.amdhsa_forward_progress 0
		.amdhsa_shared_vgpr_count 0
		.amdhsa_exception_fp_ieee_invalid_op 0
		.amdhsa_exception_fp_denorm_src 0
		.amdhsa_exception_fp_ieee_div_zero 0
		.amdhsa_exception_fp_ieee_overflow 0
		.amdhsa_exception_fp_ieee_underflow 0
		.amdhsa_exception_fp_ieee_inexact 0
		.amdhsa_exception_int_div_zero 0
	.end_amdhsa_kernel
	.section	.text._ZN7rocprim6detail19block_reduce_kernelILb1ELb0ELj16ENS0_21wrapped_reduce_configINS_14default_configEdEEdPdS5_dN6thrust4plusIdEEEEvT4_mT5_T6_T7_,"axG",@progbits,_ZN7rocprim6detail19block_reduce_kernelILb1ELb0ELj16ENS0_21wrapped_reduce_configINS_14default_configEdEEdPdS5_dN6thrust4plusIdEEEEvT4_mT5_T6_T7_,comdat
.Lfunc_end8:
	.size	_ZN7rocprim6detail19block_reduce_kernelILb1ELb0ELj16ENS0_21wrapped_reduce_configINS_14default_configEdEEdPdS5_dN6thrust4plusIdEEEEvT4_mT5_T6_T7_, .Lfunc_end8-_ZN7rocprim6detail19block_reduce_kernelILb1ELb0ELj16ENS0_21wrapped_reduce_configINS_14default_configEdEEdPdS5_dN6thrust4plusIdEEEEvT4_mT5_T6_T7_
                                        ; -- End function
	.section	.AMDGPU.csdata,"",@progbits
; Kernel info:
; codeLenInByte = 1448
; NumSgprs: 18
; NumVgprs: 8
; ScratchSize: 0
; MemoryBound: 0
; FloatMode: 240
; IeeeMode: 1
; LDSByteSize: 128 bytes/workgroup (compile time only)
; SGPRBlocks: 2
; VGPRBlocks: 0
; NumSGPRsForWavesPerEU: 18
; NumVGPRsForWavesPerEU: 8
; Occupancy: 16
; WaveLimiterHint : 0
; COMPUTE_PGM_RSRC2:SCRATCH_EN: 0
; COMPUTE_PGM_RSRC2:USER_SGPR: 15
; COMPUTE_PGM_RSRC2:TRAP_HANDLER: 0
; COMPUTE_PGM_RSRC2:TGID_X_EN: 1
; COMPUTE_PGM_RSRC2:TGID_Y_EN: 0
; COMPUTE_PGM_RSRC2:TGID_Z_EN: 0
; COMPUTE_PGM_RSRC2:TIDIG_COMP_CNT: 0
	.section	.text._ZN7rocprim6detail19block_reduce_kernelILb1ELb0ELj8ENS0_21wrapped_reduce_configINS_14default_configEdEEdPdS5_dN6thrust4plusIdEEEEvT4_mT5_T6_T7_,"axG",@progbits,_ZN7rocprim6detail19block_reduce_kernelILb1ELb0ELj8ENS0_21wrapped_reduce_configINS_14default_configEdEEdPdS5_dN6thrust4plusIdEEEEvT4_mT5_T6_T7_,comdat
	.protected	_ZN7rocprim6detail19block_reduce_kernelILb1ELb0ELj8ENS0_21wrapped_reduce_configINS_14default_configEdEEdPdS5_dN6thrust4plusIdEEEEvT4_mT5_T6_T7_ ; -- Begin function _ZN7rocprim6detail19block_reduce_kernelILb1ELb0ELj8ENS0_21wrapped_reduce_configINS_14default_configEdEEdPdS5_dN6thrust4plusIdEEEEvT4_mT5_T6_T7_
	.globl	_ZN7rocprim6detail19block_reduce_kernelILb1ELb0ELj8ENS0_21wrapped_reduce_configINS_14default_configEdEEdPdS5_dN6thrust4plusIdEEEEvT4_mT5_T6_T7_
	.p2align	8
	.type	_ZN7rocprim6detail19block_reduce_kernelILb1ELb0ELj8ENS0_21wrapped_reduce_configINS_14default_configEdEEdPdS5_dN6thrust4plusIdEEEEvT4_mT5_T6_T7_,@function
_ZN7rocprim6detail19block_reduce_kernelILb1ELb0ELj8ENS0_21wrapped_reduce_configINS_14default_configEdEEdPdS5_dN6thrust4plusIdEEEEvT4_mT5_T6_T7_: ; @_ZN7rocprim6detail19block_reduce_kernelILb1ELb0ELj8ENS0_21wrapped_reduce_configINS_14default_configEdEEdPdS5_dN6thrust4plusIdEEEEvT4_mT5_T6_T7_
; %bb.0:
	s_load_b256 s[0:7], s[0:1], 0x0
	s_mov_b32 s11, 0
	v_mbcnt_lo_u32_b32 v5, -1, 0
	s_mov_b32 s8, s15
	s_mov_b32 s9, s11
	s_lshl_b32 s10, s15, 8
	s_waitcnt lgkmcnt(0)
	s_lshr_b64 s[12:13], s[2:3], 8
	s_delay_alu instid0(SALU_CYCLE_1)
	s_cmp_lg_u64 s[12:13], s[8:9]
	s_cbranch_scc0 .LBB9_6
; %bb.1:
	s_lshl_b64 s[12:13], s[10:11], 3
	v_lshlrev_b32_e32 v1, 3, v0
	s_add_u32 s12, s0, s12
	s_addc_u32 s13, s1, s13
	global_load_b64 v[1:2], v1, s[12:13]
	s_mov_b32 s12, exec_lo
	s_waitcnt vmcnt(0)
	v_mov_b32_dpp v3, v1 quad_perm:[1,0,3,2] row_mask:0xf bank_mask:0xf
	v_mov_b32_dpp v4, v2 quad_perm:[1,0,3,2] row_mask:0xf bank_mask:0xf
	s_delay_alu instid0(VALU_DEP_1) | instskip(NEXT) | instid1(VALU_DEP_1)
	v_add_f64 v[1:2], v[1:2], v[3:4]
	v_mov_b32_dpp v3, v1 quad_perm:[2,3,0,1] row_mask:0xf bank_mask:0xf
	s_delay_alu instid0(VALU_DEP_2) | instskip(NEXT) | instid1(VALU_DEP_1)
	v_mov_b32_dpp v4, v2 quad_perm:[2,3,0,1] row_mask:0xf bank_mask:0xf
	v_add_f64 v[1:2], v[1:2], v[3:4]
	s_delay_alu instid0(VALU_DEP_1) | instskip(NEXT) | instid1(VALU_DEP_2)
	v_mov_b32_dpp v3, v1 row_ror:4 row_mask:0xf bank_mask:0xf
	v_mov_b32_dpp v4, v2 row_ror:4 row_mask:0xf bank_mask:0xf
	s_delay_alu instid0(VALU_DEP_1) | instskip(NEXT) | instid1(VALU_DEP_1)
	v_add_f64 v[1:2], v[1:2], v[3:4]
	v_mov_b32_dpp v3, v1 row_ror:8 row_mask:0xf bank_mask:0xf
	s_delay_alu instid0(VALU_DEP_2) | instskip(NEXT) | instid1(VALU_DEP_1)
	v_mov_b32_dpp v4, v2 row_ror:8 row_mask:0xf bank_mask:0xf
	v_add_f64 v[1:2], v[1:2], v[3:4]
	ds_swizzle_b32 v3, v1 offset:swizzle(BROADCAST,32,15)
	ds_swizzle_b32 v4, v2 offset:swizzle(BROADCAST,32,15)
	s_waitcnt lgkmcnt(0)
	v_add_f64 v[1:2], v[1:2], v[3:4]
	v_mov_b32_e32 v3, 0
	ds_bpermute_b32 v1, v3, v1 offset:124
	ds_bpermute_b32 v2, v3, v2 offset:124
	v_cmpx_eq_u32_e32 0, v5
	s_cbranch_execz .LBB9_3
; %bb.2:
	v_lshrrev_b32_e32 v3, 2, v0
	s_delay_alu instid0(VALU_DEP_1)
	v_and_b32_e32 v3, 56, v3
	s_waitcnt lgkmcnt(0)
	ds_store_b64 v3, v[1:2]
.LBB9_3:
	s_or_b32 exec_lo, exec_lo, s12
	s_delay_alu instid0(SALU_CYCLE_1)
	s_mov_b32 s12, exec_lo
	s_waitcnt lgkmcnt(0)
	s_barrier
	buffer_gl0_inv
	v_cmpx_gt_u32_e32 32, v0
	s_cbranch_execz .LBB9_5
; %bb.4:
	v_and_b32_e32 v6, 7, v5
	s_delay_alu instid0(VALU_DEP_1) | instskip(SKIP_4) | instid1(VALU_DEP_2)
	v_lshlrev_b32_e32 v1, 3, v6
	v_cmp_ne_u32_e32 vcc_lo, 7, v6
	ds_load_b64 v[1:2], v1
	v_add_co_ci_u32_e32 v3, vcc_lo, 0, v5, vcc_lo
	v_cmp_gt_u32_e32 vcc_lo, 6, v6
	v_lshlrev_b32_e32 v4, 2, v3
	s_waitcnt lgkmcnt(0)
	ds_bpermute_b32 v3, v4, v1
	ds_bpermute_b32 v4, v4, v2
	s_waitcnt lgkmcnt(0)
	v_add_f64 v[1:2], v[1:2], v[3:4]
	v_cndmask_b32_e64 v3, 0, 1, vcc_lo
	v_cmp_gt_u32_e32 vcc_lo, 4, v6
	s_delay_alu instid0(VALU_DEP_2) | instskip(NEXT) | instid1(VALU_DEP_1)
	v_lshlrev_b32_e32 v3, 1, v3
	v_add_lshl_u32 v4, v3, v5, 2
	ds_bpermute_b32 v3, v4, v1
	ds_bpermute_b32 v4, v4, v2
	s_waitcnt lgkmcnt(0)
	v_add_f64 v[1:2], v[1:2], v[3:4]
	v_cndmask_b32_e64 v3, 0, 1, vcc_lo
	s_delay_alu instid0(VALU_DEP_1) | instskip(NEXT) | instid1(VALU_DEP_1)
	v_lshlrev_b32_e32 v3, 2, v3
	v_add_lshl_u32 v4, v3, v5, 2
	ds_bpermute_b32 v3, v4, v1
	ds_bpermute_b32 v4, v4, v2
	s_waitcnt lgkmcnt(0)
	v_add_f64 v[1:2], v[1:2], v[3:4]
.LBB9_5:
	s_or_b32 exec_lo, exec_lo, s12
	s_branch .LBB9_30
.LBB9_6:
                                        ; implicit-def: $vgpr1_vgpr2
	s_cbranch_execz .LBB9_30
; %bb.7:
	s_sub_i32 s12, s2, s10
	s_mov_b32 s13, exec_lo
                                        ; implicit-def: $vgpr1_vgpr2
	v_cmpx_gt_u32_e64 s12, v0
	s_cbranch_execz .LBB9_9
; %bb.8:
	s_lshl_b64 s[10:11], s[10:11], 3
	v_lshlrev_b32_e32 v1, 3, v0
	s_add_u32 s0, s0, s10
	s_addc_u32 s1, s1, s11
	global_load_b64 v[1:2], v1, s[0:1]
.LBB9_9:
	s_or_b32 exec_lo, exec_lo, s13
	v_cmp_ne_u32_e32 vcc_lo, 31, v5
	v_and_b32_e32 v6, 0xe0, v0
	s_min_u32 s0, s12, 0x100
	v_add_nc_u32_e32 v7, 1, v5
	s_mov_b32 s1, exec_lo
	v_add_co_ci_u32_e32 v3, vcc_lo, 0, v5, vcc_lo
	v_sub_nc_u32_e64 v6, s0, v6 clamp
	s_delay_alu instid0(VALU_DEP_2)
	v_lshlrev_b32_e32 v4, 2, v3
	s_waitcnt vmcnt(0)
	ds_bpermute_b32 v3, v4, v1
	ds_bpermute_b32 v4, v4, v2
	v_cmpx_lt_u32_e64 v7, v6
	s_cbranch_execz .LBB9_11
; %bb.10:
	s_waitcnt lgkmcnt(0)
	v_add_f64 v[1:2], v[1:2], v[3:4]
.LBB9_11:
	s_or_b32 exec_lo, exec_lo, s1
	v_cmp_gt_u32_e32 vcc_lo, 30, v5
	v_add_nc_u32_e32 v7, 2, v5
	s_mov_b32 s1, exec_lo
	s_waitcnt lgkmcnt(1)
	v_cndmask_b32_e64 v3, 0, 1, vcc_lo
	s_delay_alu instid0(VALU_DEP_1) | instskip(SKIP_1) | instid1(VALU_DEP_1)
	v_lshlrev_b32_e32 v3, 1, v3
	s_waitcnt lgkmcnt(0)
	v_add_lshl_u32 v4, v3, v5, 2
	ds_bpermute_b32 v3, v4, v1
	ds_bpermute_b32 v4, v4, v2
	v_cmpx_lt_u32_e64 v7, v6
	s_cbranch_execz .LBB9_13
; %bb.12:
	s_waitcnt lgkmcnt(0)
	v_add_f64 v[1:2], v[1:2], v[3:4]
.LBB9_13:
	s_or_b32 exec_lo, exec_lo, s1
	v_cmp_gt_u32_e32 vcc_lo, 28, v5
	v_add_nc_u32_e32 v7, 4, v5
	s_mov_b32 s1, exec_lo
	s_waitcnt lgkmcnt(1)
	v_cndmask_b32_e64 v3, 0, 1, vcc_lo
	s_delay_alu instid0(VALU_DEP_1) | instskip(SKIP_1) | instid1(VALU_DEP_1)
	v_lshlrev_b32_e32 v3, 2, v3
	s_waitcnt lgkmcnt(0)
	v_add_lshl_u32 v4, v3, v5, 2
	;; [unrolled: 18-line block ×4, first 2 shown]
	ds_bpermute_b32 v3, v4, v1
	ds_bpermute_b32 v4, v4, v2
	v_cmpx_lt_u32_e64 v7, v6
	s_cbranch_execz .LBB9_19
; %bb.18:
	s_waitcnt lgkmcnt(0)
	v_add_f64 v[1:2], v[1:2], v[3:4]
.LBB9_19:
	s_or_b32 exec_lo, exec_lo, s1
	s_delay_alu instid0(SALU_CYCLE_1)
	s_mov_b32 s1, exec_lo
	v_cmpx_eq_u32_e32 0, v5
	s_cbranch_execz .LBB9_21
; %bb.20:
	s_waitcnt lgkmcnt(1)
	v_lshrrev_b32_e32 v3, 2, v0
	s_delay_alu instid0(VALU_DEP_1)
	v_and_b32_e32 v3, 56, v3
	ds_store_b64 v3, v[1:2] offset:64
.LBB9_21:
	s_or_b32 exec_lo, exec_lo, s1
	s_delay_alu instid0(SALU_CYCLE_1)
	s_mov_b32 s1, exec_lo
	s_waitcnt lgkmcnt(0)
	s_barrier
	buffer_gl0_inv
	v_cmpx_gt_u32_e32 8, v0
	s_cbranch_execz .LBB9_29
; %bb.22:
	v_lshlrev_b32_e32 v1, 3, v5
	v_and_b32_e32 v6, 7, v5
	s_add_i32 s0, s0, 31
	s_mov_b32 s10, exec_lo
	s_lshr_b32 s0, s0, 5
	ds_load_b64 v[1:2], v1 offset:64
	v_cmp_ne_u32_e32 vcc_lo, 7, v6
	v_add_nc_u32_e32 v7, 1, v6
	v_add_co_ci_u32_e32 v3, vcc_lo, 0, v5, vcc_lo
	s_delay_alu instid0(VALU_DEP_1)
	v_lshlrev_b32_e32 v4, 2, v3
	s_waitcnt lgkmcnt(0)
	ds_bpermute_b32 v3, v4, v1
	ds_bpermute_b32 v4, v4, v2
	v_cmpx_gt_u32_e64 s0, v7
	s_cbranch_execz .LBB9_24
; %bb.23:
	s_waitcnt lgkmcnt(0)
	v_add_f64 v[1:2], v[1:2], v[3:4]
.LBB9_24:
	s_or_b32 exec_lo, exec_lo, s10
	v_cmp_gt_u32_e32 vcc_lo, 6, v6
	v_add_nc_u32_e32 v7, 2, v6
	s_mov_b32 s10, exec_lo
	s_waitcnt lgkmcnt(1)
	v_cndmask_b32_e64 v3, 0, 1, vcc_lo
	s_delay_alu instid0(VALU_DEP_1) | instskip(SKIP_1) | instid1(VALU_DEP_1)
	v_lshlrev_b32_e32 v3, 1, v3
	s_waitcnt lgkmcnt(0)
	v_add_lshl_u32 v4, v3, v5, 2
	ds_bpermute_b32 v3, v4, v1
	ds_bpermute_b32 v4, v4, v2
	v_cmpx_gt_u32_e64 s0, v7
	s_cbranch_execz .LBB9_26
; %bb.25:
	s_waitcnt lgkmcnt(0)
	v_add_f64 v[1:2], v[1:2], v[3:4]
.LBB9_26:
	s_or_b32 exec_lo, exec_lo, s10
	v_cmp_gt_u32_e32 vcc_lo, 4, v6
	s_waitcnt lgkmcnt(1)
	v_cndmask_b32_e64 v3, 0, 1, vcc_lo
	s_delay_alu instid0(VALU_DEP_1) | instskip(SKIP_1) | instid1(VALU_DEP_1)
	v_lshlrev_b32_e32 v3, 2, v3
	s_waitcnt lgkmcnt(0)
	v_add_lshl_u32 v4, v3, v5, 2
	v_add_nc_u32_e32 v5, 4, v6
	ds_bpermute_b32 v3, v4, v1
	ds_bpermute_b32 v4, v4, v2
	v_cmp_gt_u32_e32 vcc_lo, s0, v5
	s_and_saveexec_b32 s0, vcc_lo
	s_cbranch_execz .LBB9_28
; %bb.27:
	s_waitcnt lgkmcnt(0)
	v_add_f64 v[1:2], v[1:2], v[3:4]
.LBB9_28:
	s_or_b32 exec_lo, exec_lo, s0
.LBB9_29:
	s_delay_alu instid0(SALU_CYCLE_1)
	s_or_b32 exec_lo, exec_lo, s1
.LBB9_30:
	s_delay_alu instid0(SALU_CYCLE_1)
	s_mov_b32 s0, exec_lo
	v_cmpx_eq_u32_e32 0, v0
	s_cbranch_execz .LBB9_32
; %bb.31:
	s_delay_alu instid0(VALU_DEP_2)
	v_add_f64 v[0:1], v[1:2], s[6:7]
	s_lshl_b64 s[0:1], s[8:9], 3
	v_mov_b32_e32 v2, 0
	s_add_u32 s0, s4, s0
	s_addc_u32 s1, s5, s1
	s_cmp_eq_u64 s[2:3], 0
	s_cselect_b32 s2, -1, 0
	s_delay_alu instid0(VALU_DEP_2) | instid1(SALU_CYCLE_1)
	v_cndmask_b32_e64 v1, v1, s7, s2
	s_delay_alu instid0(VALU_DEP_3)
	v_cndmask_b32_e64 v0, v0, s6, s2
	global_store_b64 v2, v[0:1], s[0:1]
.LBB9_32:
	s_nop 0
	s_sendmsg sendmsg(MSG_DEALLOC_VGPRS)
	s_endpgm
	.section	.rodata,"a",@progbits
	.p2align	6, 0x0
	.amdhsa_kernel _ZN7rocprim6detail19block_reduce_kernelILb1ELb0ELj8ENS0_21wrapped_reduce_configINS_14default_configEdEEdPdS5_dN6thrust4plusIdEEEEvT4_mT5_T6_T7_
		.amdhsa_group_segment_fixed_size 128
		.amdhsa_private_segment_fixed_size 0
		.amdhsa_kernarg_size 36
		.amdhsa_user_sgpr_count 15
		.amdhsa_user_sgpr_dispatch_ptr 0
		.amdhsa_user_sgpr_queue_ptr 0
		.amdhsa_user_sgpr_kernarg_segment_ptr 1
		.amdhsa_user_sgpr_dispatch_id 0
		.amdhsa_user_sgpr_private_segment_size 0
		.amdhsa_wavefront_size32 1
		.amdhsa_uses_dynamic_stack 0
		.amdhsa_enable_private_segment 0
		.amdhsa_system_sgpr_workgroup_id_x 1
		.amdhsa_system_sgpr_workgroup_id_y 0
		.amdhsa_system_sgpr_workgroup_id_z 0
		.amdhsa_system_sgpr_workgroup_info 0
		.amdhsa_system_vgpr_workitem_id 0
		.amdhsa_next_free_vgpr 8
		.amdhsa_next_free_sgpr 16
		.amdhsa_reserve_vcc 1
		.amdhsa_float_round_mode_32 0
		.amdhsa_float_round_mode_16_64 0
		.amdhsa_float_denorm_mode_32 3
		.amdhsa_float_denorm_mode_16_64 3
		.amdhsa_dx10_clamp 1
		.amdhsa_ieee_mode 1
		.amdhsa_fp16_overflow 0
		.amdhsa_workgroup_processor_mode 1
		.amdhsa_memory_ordered 1
		.amdhsa_forward_progress 0
		.amdhsa_shared_vgpr_count 0
		.amdhsa_exception_fp_ieee_invalid_op 0
		.amdhsa_exception_fp_denorm_src 0
		.amdhsa_exception_fp_ieee_div_zero 0
		.amdhsa_exception_fp_ieee_overflow 0
		.amdhsa_exception_fp_ieee_underflow 0
		.amdhsa_exception_fp_ieee_inexact 0
		.amdhsa_exception_int_div_zero 0
	.end_amdhsa_kernel
	.section	.text._ZN7rocprim6detail19block_reduce_kernelILb1ELb0ELj8ENS0_21wrapped_reduce_configINS_14default_configEdEEdPdS5_dN6thrust4plusIdEEEEvT4_mT5_T6_T7_,"axG",@progbits,_ZN7rocprim6detail19block_reduce_kernelILb1ELb0ELj8ENS0_21wrapped_reduce_configINS_14default_configEdEEdPdS5_dN6thrust4plusIdEEEEvT4_mT5_T6_T7_,comdat
.Lfunc_end9:
	.size	_ZN7rocprim6detail19block_reduce_kernelILb1ELb0ELj8ENS0_21wrapped_reduce_configINS_14default_configEdEEdPdS5_dN6thrust4plusIdEEEEvT4_mT5_T6_T7_, .Lfunc_end9-_ZN7rocprim6detail19block_reduce_kernelILb1ELb0ELj8ENS0_21wrapped_reduce_configINS_14default_configEdEEdPdS5_dN6thrust4plusIdEEEEvT4_mT5_T6_T7_
                                        ; -- End function
	.section	.AMDGPU.csdata,"",@progbits
; Kernel info:
; codeLenInByte = 1448
; NumSgprs: 18
; NumVgprs: 8
; ScratchSize: 0
; MemoryBound: 0
; FloatMode: 240
; IeeeMode: 1
; LDSByteSize: 128 bytes/workgroup (compile time only)
; SGPRBlocks: 2
; VGPRBlocks: 0
; NumSGPRsForWavesPerEU: 18
; NumVGPRsForWavesPerEU: 8
; Occupancy: 16
; WaveLimiterHint : 0
; COMPUTE_PGM_RSRC2:SCRATCH_EN: 0
; COMPUTE_PGM_RSRC2:USER_SGPR: 15
; COMPUTE_PGM_RSRC2:TRAP_HANDLER: 0
; COMPUTE_PGM_RSRC2:TGID_X_EN: 1
; COMPUTE_PGM_RSRC2:TGID_Y_EN: 0
; COMPUTE_PGM_RSRC2:TGID_Z_EN: 0
; COMPUTE_PGM_RSRC2:TIDIG_COMP_CNT: 0
	.section	.text._ZN7rocprim6detail19block_reduce_kernelILb1ELb0ELj4ENS0_21wrapped_reduce_configINS_14default_configEdEEdPdS5_dN6thrust4plusIdEEEEvT4_mT5_T6_T7_,"axG",@progbits,_ZN7rocprim6detail19block_reduce_kernelILb1ELb0ELj4ENS0_21wrapped_reduce_configINS_14default_configEdEEdPdS5_dN6thrust4plusIdEEEEvT4_mT5_T6_T7_,comdat
	.protected	_ZN7rocprim6detail19block_reduce_kernelILb1ELb0ELj4ENS0_21wrapped_reduce_configINS_14default_configEdEEdPdS5_dN6thrust4plusIdEEEEvT4_mT5_T6_T7_ ; -- Begin function _ZN7rocprim6detail19block_reduce_kernelILb1ELb0ELj4ENS0_21wrapped_reduce_configINS_14default_configEdEEdPdS5_dN6thrust4plusIdEEEEvT4_mT5_T6_T7_
	.globl	_ZN7rocprim6detail19block_reduce_kernelILb1ELb0ELj4ENS0_21wrapped_reduce_configINS_14default_configEdEEdPdS5_dN6thrust4plusIdEEEEvT4_mT5_T6_T7_
	.p2align	8
	.type	_ZN7rocprim6detail19block_reduce_kernelILb1ELb0ELj4ENS0_21wrapped_reduce_configINS_14default_configEdEEdPdS5_dN6thrust4plusIdEEEEvT4_mT5_T6_T7_,@function
_ZN7rocprim6detail19block_reduce_kernelILb1ELb0ELj4ENS0_21wrapped_reduce_configINS_14default_configEdEEdPdS5_dN6thrust4plusIdEEEEvT4_mT5_T6_T7_: ; @_ZN7rocprim6detail19block_reduce_kernelILb1ELb0ELj4ENS0_21wrapped_reduce_configINS_14default_configEdEEdPdS5_dN6thrust4plusIdEEEEvT4_mT5_T6_T7_
; %bb.0:
	s_load_b256 s[0:7], s[0:1], 0x0
	s_mov_b32 s11, 0
	v_mbcnt_lo_u32_b32 v5, -1, 0
	s_mov_b32 s8, s15
	s_mov_b32 s9, s11
	s_lshl_b32 s10, s15, 8
	s_waitcnt lgkmcnt(0)
	s_lshr_b64 s[12:13], s[2:3], 8
	s_delay_alu instid0(SALU_CYCLE_1)
	s_cmp_lg_u64 s[12:13], s[8:9]
	s_cbranch_scc0 .LBB10_6
; %bb.1:
	s_lshl_b64 s[12:13], s[10:11], 3
	v_lshlrev_b32_e32 v1, 3, v0
	s_add_u32 s12, s0, s12
	s_addc_u32 s13, s1, s13
	global_load_b64 v[1:2], v1, s[12:13]
	s_mov_b32 s12, exec_lo
	s_waitcnt vmcnt(0)
	v_mov_b32_dpp v3, v1 quad_perm:[1,0,3,2] row_mask:0xf bank_mask:0xf
	v_mov_b32_dpp v4, v2 quad_perm:[1,0,3,2] row_mask:0xf bank_mask:0xf
	s_delay_alu instid0(VALU_DEP_1) | instskip(NEXT) | instid1(VALU_DEP_1)
	v_add_f64 v[1:2], v[1:2], v[3:4]
	v_mov_b32_dpp v3, v1 quad_perm:[2,3,0,1] row_mask:0xf bank_mask:0xf
	s_delay_alu instid0(VALU_DEP_2) | instskip(NEXT) | instid1(VALU_DEP_1)
	v_mov_b32_dpp v4, v2 quad_perm:[2,3,0,1] row_mask:0xf bank_mask:0xf
	v_add_f64 v[1:2], v[1:2], v[3:4]
	s_delay_alu instid0(VALU_DEP_1) | instskip(NEXT) | instid1(VALU_DEP_2)
	v_mov_b32_dpp v3, v1 row_ror:4 row_mask:0xf bank_mask:0xf
	v_mov_b32_dpp v4, v2 row_ror:4 row_mask:0xf bank_mask:0xf
	s_delay_alu instid0(VALU_DEP_1) | instskip(NEXT) | instid1(VALU_DEP_1)
	v_add_f64 v[1:2], v[1:2], v[3:4]
	v_mov_b32_dpp v3, v1 row_ror:8 row_mask:0xf bank_mask:0xf
	s_delay_alu instid0(VALU_DEP_2) | instskip(NEXT) | instid1(VALU_DEP_1)
	v_mov_b32_dpp v4, v2 row_ror:8 row_mask:0xf bank_mask:0xf
	v_add_f64 v[1:2], v[1:2], v[3:4]
	ds_swizzle_b32 v3, v1 offset:swizzle(BROADCAST,32,15)
	ds_swizzle_b32 v4, v2 offset:swizzle(BROADCAST,32,15)
	s_waitcnt lgkmcnt(0)
	v_add_f64 v[1:2], v[1:2], v[3:4]
	v_mov_b32_e32 v3, 0
	ds_bpermute_b32 v1, v3, v1 offset:124
	ds_bpermute_b32 v2, v3, v2 offset:124
	v_cmpx_eq_u32_e32 0, v5
	s_cbranch_execz .LBB10_3
; %bb.2:
	v_lshrrev_b32_e32 v3, 2, v0
	s_delay_alu instid0(VALU_DEP_1)
	v_and_b32_e32 v3, 56, v3
	s_waitcnt lgkmcnt(0)
	ds_store_b64 v3, v[1:2]
.LBB10_3:
	s_or_b32 exec_lo, exec_lo, s12
	s_delay_alu instid0(SALU_CYCLE_1)
	s_mov_b32 s12, exec_lo
	s_waitcnt lgkmcnt(0)
	s_barrier
	buffer_gl0_inv
	v_cmpx_gt_u32_e32 32, v0
	s_cbranch_execz .LBB10_5
; %bb.4:
	v_and_b32_e32 v6, 7, v5
	s_delay_alu instid0(VALU_DEP_1) | instskip(SKIP_4) | instid1(VALU_DEP_2)
	v_lshlrev_b32_e32 v1, 3, v6
	v_cmp_ne_u32_e32 vcc_lo, 7, v6
	ds_load_b64 v[1:2], v1
	v_add_co_ci_u32_e32 v3, vcc_lo, 0, v5, vcc_lo
	v_cmp_gt_u32_e32 vcc_lo, 6, v6
	v_lshlrev_b32_e32 v4, 2, v3
	s_waitcnt lgkmcnt(0)
	ds_bpermute_b32 v3, v4, v1
	ds_bpermute_b32 v4, v4, v2
	s_waitcnt lgkmcnt(0)
	v_add_f64 v[1:2], v[1:2], v[3:4]
	v_cndmask_b32_e64 v3, 0, 1, vcc_lo
	v_cmp_gt_u32_e32 vcc_lo, 4, v6
	s_delay_alu instid0(VALU_DEP_2) | instskip(NEXT) | instid1(VALU_DEP_1)
	v_lshlrev_b32_e32 v3, 1, v3
	v_add_lshl_u32 v4, v3, v5, 2
	ds_bpermute_b32 v3, v4, v1
	ds_bpermute_b32 v4, v4, v2
	s_waitcnt lgkmcnt(0)
	v_add_f64 v[1:2], v[1:2], v[3:4]
	v_cndmask_b32_e64 v3, 0, 1, vcc_lo
	s_delay_alu instid0(VALU_DEP_1) | instskip(NEXT) | instid1(VALU_DEP_1)
	v_lshlrev_b32_e32 v3, 2, v3
	v_add_lshl_u32 v4, v3, v5, 2
	ds_bpermute_b32 v3, v4, v1
	ds_bpermute_b32 v4, v4, v2
	s_waitcnt lgkmcnt(0)
	v_add_f64 v[1:2], v[1:2], v[3:4]
.LBB10_5:
	s_or_b32 exec_lo, exec_lo, s12
	s_branch .LBB10_30
.LBB10_6:
                                        ; implicit-def: $vgpr1_vgpr2
	s_cbranch_execz .LBB10_30
; %bb.7:
	s_sub_i32 s12, s2, s10
	s_mov_b32 s13, exec_lo
                                        ; implicit-def: $vgpr1_vgpr2
	v_cmpx_gt_u32_e64 s12, v0
	s_cbranch_execz .LBB10_9
; %bb.8:
	s_lshl_b64 s[10:11], s[10:11], 3
	v_lshlrev_b32_e32 v1, 3, v0
	s_add_u32 s0, s0, s10
	s_addc_u32 s1, s1, s11
	global_load_b64 v[1:2], v1, s[0:1]
.LBB10_9:
	s_or_b32 exec_lo, exec_lo, s13
	v_cmp_ne_u32_e32 vcc_lo, 31, v5
	v_and_b32_e32 v6, 0xe0, v0
	s_min_u32 s0, s12, 0x100
	v_add_nc_u32_e32 v7, 1, v5
	s_mov_b32 s1, exec_lo
	v_add_co_ci_u32_e32 v3, vcc_lo, 0, v5, vcc_lo
	v_sub_nc_u32_e64 v6, s0, v6 clamp
	s_delay_alu instid0(VALU_DEP_2)
	v_lshlrev_b32_e32 v4, 2, v3
	s_waitcnt vmcnt(0)
	ds_bpermute_b32 v3, v4, v1
	ds_bpermute_b32 v4, v4, v2
	v_cmpx_lt_u32_e64 v7, v6
	s_cbranch_execz .LBB10_11
; %bb.10:
	s_waitcnt lgkmcnt(0)
	v_add_f64 v[1:2], v[1:2], v[3:4]
.LBB10_11:
	s_or_b32 exec_lo, exec_lo, s1
	v_cmp_gt_u32_e32 vcc_lo, 30, v5
	v_add_nc_u32_e32 v7, 2, v5
	s_mov_b32 s1, exec_lo
	s_waitcnt lgkmcnt(1)
	v_cndmask_b32_e64 v3, 0, 1, vcc_lo
	s_delay_alu instid0(VALU_DEP_1) | instskip(SKIP_1) | instid1(VALU_DEP_1)
	v_lshlrev_b32_e32 v3, 1, v3
	s_waitcnt lgkmcnt(0)
	v_add_lshl_u32 v4, v3, v5, 2
	ds_bpermute_b32 v3, v4, v1
	ds_bpermute_b32 v4, v4, v2
	v_cmpx_lt_u32_e64 v7, v6
	s_cbranch_execz .LBB10_13
; %bb.12:
	s_waitcnt lgkmcnt(0)
	v_add_f64 v[1:2], v[1:2], v[3:4]
.LBB10_13:
	s_or_b32 exec_lo, exec_lo, s1
	v_cmp_gt_u32_e32 vcc_lo, 28, v5
	v_add_nc_u32_e32 v7, 4, v5
	s_mov_b32 s1, exec_lo
	s_waitcnt lgkmcnt(1)
	v_cndmask_b32_e64 v3, 0, 1, vcc_lo
	s_delay_alu instid0(VALU_DEP_1) | instskip(SKIP_1) | instid1(VALU_DEP_1)
	v_lshlrev_b32_e32 v3, 2, v3
	s_waitcnt lgkmcnt(0)
	v_add_lshl_u32 v4, v3, v5, 2
	;; [unrolled: 18-line block ×4, first 2 shown]
	ds_bpermute_b32 v3, v4, v1
	ds_bpermute_b32 v4, v4, v2
	v_cmpx_lt_u32_e64 v7, v6
	s_cbranch_execz .LBB10_19
; %bb.18:
	s_waitcnt lgkmcnt(0)
	v_add_f64 v[1:2], v[1:2], v[3:4]
.LBB10_19:
	s_or_b32 exec_lo, exec_lo, s1
	s_delay_alu instid0(SALU_CYCLE_1)
	s_mov_b32 s1, exec_lo
	v_cmpx_eq_u32_e32 0, v5
	s_cbranch_execz .LBB10_21
; %bb.20:
	s_waitcnt lgkmcnt(1)
	v_lshrrev_b32_e32 v3, 2, v0
	s_delay_alu instid0(VALU_DEP_1)
	v_and_b32_e32 v3, 56, v3
	ds_store_b64 v3, v[1:2] offset:64
.LBB10_21:
	s_or_b32 exec_lo, exec_lo, s1
	s_delay_alu instid0(SALU_CYCLE_1)
	s_mov_b32 s1, exec_lo
	s_waitcnt lgkmcnt(0)
	s_barrier
	buffer_gl0_inv
	v_cmpx_gt_u32_e32 8, v0
	s_cbranch_execz .LBB10_29
; %bb.22:
	v_lshlrev_b32_e32 v1, 3, v5
	v_and_b32_e32 v6, 7, v5
	s_add_i32 s0, s0, 31
	s_mov_b32 s10, exec_lo
	s_lshr_b32 s0, s0, 5
	ds_load_b64 v[1:2], v1 offset:64
	v_cmp_ne_u32_e32 vcc_lo, 7, v6
	v_add_nc_u32_e32 v7, 1, v6
	v_add_co_ci_u32_e32 v3, vcc_lo, 0, v5, vcc_lo
	s_delay_alu instid0(VALU_DEP_1)
	v_lshlrev_b32_e32 v4, 2, v3
	s_waitcnt lgkmcnt(0)
	ds_bpermute_b32 v3, v4, v1
	ds_bpermute_b32 v4, v4, v2
	v_cmpx_gt_u32_e64 s0, v7
	s_cbranch_execz .LBB10_24
; %bb.23:
	s_waitcnt lgkmcnt(0)
	v_add_f64 v[1:2], v[1:2], v[3:4]
.LBB10_24:
	s_or_b32 exec_lo, exec_lo, s10
	v_cmp_gt_u32_e32 vcc_lo, 6, v6
	v_add_nc_u32_e32 v7, 2, v6
	s_mov_b32 s10, exec_lo
	s_waitcnt lgkmcnt(1)
	v_cndmask_b32_e64 v3, 0, 1, vcc_lo
	s_delay_alu instid0(VALU_DEP_1) | instskip(SKIP_1) | instid1(VALU_DEP_1)
	v_lshlrev_b32_e32 v3, 1, v3
	s_waitcnt lgkmcnt(0)
	v_add_lshl_u32 v4, v3, v5, 2
	ds_bpermute_b32 v3, v4, v1
	ds_bpermute_b32 v4, v4, v2
	v_cmpx_gt_u32_e64 s0, v7
	s_cbranch_execz .LBB10_26
; %bb.25:
	s_waitcnt lgkmcnt(0)
	v_add_f64 v[1:2], v[1:2], v[3:4]
.LBB10_26:
	s_or_b32 exec_lo, exec_lo, s10
	v_cmp_gt_u32_e32 vcc_lo, 4, v6
	s_waitcnt lgkmcnt(1)
	v_cndmask_b32_e64 v3, 0, 1, vcc_lo
	s_delay_alu instid0(VALU_DEP_1) | instskip(SKIP_1) | instid1(VALU_DEP_1)
	v_lshlrev_b32_e32 v3, 2, v3
	s_waitcnt lgkmcnt(0)
	v_add_lshl_u32 v4, v3, v5, 2
	v_add_nc_u32_e32 v5, 4, v6
	ds_bpermute_b32 v3, v4, v1
	ds_bpermute_b32 v4, v4, v2
	v_cmp_gt_u32_e32 vcc_lo, s0, v5
	s_and_saveexec_b32 s0, vcc_lo
	s_cbranch_execz .LBB10_28
; %bb.27:
	s_waitcnt lgkmcnt(0)
	v_add_f64 v[1:2], v[1:2], v[3:4]
.LBB10_28:
	s_or_b32 exec_lo, exec_lo, s0
.LBB10_29:
	s_delay_alu instid0(SALU_CYCLE_1)
	s_or_b32 exec_lo, exec_lo, s1
.LBB10_30:
	s_delay_alu instid0(SALU_CYCLE_1)
	s_mov_b32 s0, exec_lo
	v_cmpx_eq_u32_e32 0, v0
	s_cbranch_execz .LBB10_32
; %bb.31:
	s_delay_alu instid0(VALU_DEP_2)
	v_add_f64 v[0:1], v[1:2], s[6:7]
	s_lshl_b64 s[0:1], s[8:9], 3
	v_mov_b32_e32 v2, 0
	s_add_u32 s0, s4, s0
	s_addc_u32 s1, s5, s1
	s_cmp_eq_u64 s[2:3], 0
	s_cselect_b32 s2, -1, 0
	s_delay_alu instid0(VALU_DEP_2) | instid1(SALU_CYCLE_1)
	v_cndmask_b32_e64 v1, v1, s7, s2
	s_delay_alu instid0(VALU_DEP_3)
	v_cndmask_b32_e64 v0, v0, s6, s2
	global_store_b64 v2, v[0:1], s[0:1]
.LBB10_32:
	s_nop 0
	s_sendmsg sendmsg(MSG_DEALLOC_VGPRS)
	s_endpgm
	.section	.rodata,"a",@progbits
	.p2align	6, 0x0
	.amdhsa_kernel _ZN7rocprim6detail19block_reduce_kernelILb1ELb0ELj4ENS0_21wrapped_reduce_configINS_14default_configEdEEdPdS5_dN6thrust4plusIdEEEEvT4_mT5_T6_T7_
		.amdhsa_group_segment_fixed_size 128
		.amdhsa_private_segment_fixed_size 0
		.amdhsa_kernarg_size 36
		.amdhsa_user_sgpr_count 15
		.amdhsa_user_sgpr_dispatch_ptr 0
		.amdhsa_user_sgpr_queue_ptr 0
		.amdhsa_user_sgpr_kernarg_segment_ptr 1
		.amdhsa_user_sgpr_dispatch_id 0
		.amdhsa_user_sgpr_private_segment_size 0
		.amdhsa_wavefront_size32 1
		.amdhsa_uses_dynamic_stack 0
		.amdhsa_enable_private_segment 0
		.amdhsa_system_sgpr_workgroup_id_x 1
		.amdhsa_system_sgpr_workgroup_id_y 0
		.amdhsa_system_sgpr_workgroup_id_z 0
		.amdhsa_system_sgpr_workgroup_info 0
		.amdhsa_system_vgpr_workitem_id 0
		.amdhsa_next_free_vgpr 8
		.amdhsa_next_free_sgpr 16
		.amdhsa_reserve_vcc 1
		.amdhsa_float_round_mode_32 0
		.amdhsa_float_round_mode_16_64 0
		.amdhsa_float_denorm_mode_32 3
		.amdhsa_float_denorm_mode_16_64 3
		.amdhsa_dx10_clamp 1
		.amdhsa_ieee_mode 1
		.amdhsa_fp16_overflow 0
		.amdhsa_workgroup_processor_mode 1
		.amdhsa_memory_ordered 1
		.amdhsa_forward_progress 0
		.amdhsa_shared_vgpr_count 0
		.amdhsa_exception_fp_ieee_invalid_op 0
		.amdhsa_exception_fp_denorm_src 0
		.amdhsa_exception_fp_ieee_div_zero 0
		.amdhsa_exception_fp_ieee_overflow 0
		.amdhsa_exception_fp_ieee_underflow 0
		.amdhsa_exception_fp_ieee_inexact 0
		.amdhsa_exception_int_div_zero 0
	.end_amdhsa_kernel
	.section	.text._ZN7rocprim6detail19block_reduce_kernelILb1ELb0ELj4ENS0_21wrapped_reduce_configINS_14default_configEdEEdPdS5_dN6thrust4plusIdEEEEvT4_mT5_T6_T7_,"axG",@progbits,_ZN7rocprim6detail19block_reduce_kernelILb1ELb0ELj4ENS0_21wrapped_reduce_configINS_14default_configEdEEdPdS5_dN6thrust4plusIdEEEEvT4_mT5_T6_T7_,comdat
.Lfunc_end10:
	.size	_ZN7rocprim6detail19block_reduce_kernelILb1ELb0ELj4ENS0_21wrapped_reduce_configINS_14default_configEdEEdPdS5_dN6thrust4plusIdEEEEvT4_mT5_T6_T7_, .Lfunc_end10-_ZN7rocprim6detail19block_reduce_kernelILb1ELb0ELj4ENS0_21wrapped_reduce_configINS_14default_configEdEEdPdS5_dN6thrust4plusIdEEEEvT4_mT5_T6_T7_
                                        ; -- End function
	.section	.AMDGPU.csdata,"",@progbits
; Kernel info:
; codeLenInByte = 1448
; NumSgprs: 18
; NumVgprs: 8
; ScratchSize: 0
; MemoryBound: 0
; FloatMode: 240
; IeeeMode: 1
; LDSByteSize: 128 bytes/workgroup (compile time only)
; SGPRBlocks: 2
; VGPRBlocks: 0
; NumSGPRsForWavesPerEU: 18
; NumVGPRsForWavesPerEU: 8
; Occupancy: 16
; WaveLimiterHint : 0
; COMPUTE_PGM_RSRC2:SCRATCH_EN: 0
; COMPUTE_PGM_RSRC2:USER_SGPR: 15
; COMPUTE_PGM_RSRC2:TRAP_HANDLER: 0
; COMPUTE_PGM_RSRC2:TGID_X_EN: 1
; COMPUTE_PGM_RSRC2:TGID_Y_EN: 0
; COMPUTE_PGM_RSRC2:TGID_Z_EN: 0
; COMPUTE_PGM_RSRC2:TIDIG_COMP_CNT: 0
	.section	.text._ZN7rocprim6detail19block_reduce_kernelILb1ELb0ELj2ENS0_21wrapped_reduce_configINS_14default_configEdEEdPdS5_dN6thrust4plusIdEEEEvT4_mT5_T6_T7_,"axG",@progbits,_ZN7rocprim6detail19block_reduce_kernelILb1ELb0ELj2ENS0_21wrapped_reduce_configINS_14default_configEdEEdPdS5_dN6thrust4plusIdEEEEvT4_mT5_T6_T7_,comdat
	.protected	_ZN7rocprim6detail19block_reduce_kernelILb1ELb0ELj2ENS0_21wrapped_reduce_configINS_14default_configEdEEdPdS5_dN6thrust4plusIdEEEEvT4_mT5_T6_T7_ ; -- Begin function _ZN7rocprim6detail19block_reduce_kernelILb1ELb0ELj2ENS0_21wrapped_reduce_configINS_14default_configEdEEdPdS5_dN6thrust4plusIdEEEEvT4_mT5_T6_T7_
	.globl	_ZN7rocprim6detail19block_reduce_kernelILb1ELb0ELj2ENS0_21wrapped_reduce_configINS_14default_configEdEEdPdS5_dN6thrust4plusIdEEEEvT4_mT5_T6_T7_
	.p2align	8
	.type	_ZN7rocprim6detail19block_reduce_kernelILb1ELb0ELj2ENS0_21wrapped_reduce_configINS_14default_configEdEEdPdS5_dN6thrust4plusIdEEEEvT4_mT5_T6_T7_,@function
_ZN7rocprim6detail19block_reduce_kernelILb1ELb0ELj2ENS0_21wrapped_reduce_configINS_14default_configEdEEdPdS5_dN6thrust4plusIdEEEEvT4_mT5_T6_T7_: ; @_ZN7rocprim6detail19block_reduce_kernelILb1ELb0ELj2ENS0_21wrapped_reduce_configINS_14default_configEdEEdPdS5_dN6thrust4plusIdEEEEvT4_mT5_T6_T7_
; %bb.0:
	s_load_b256 s[0:7], s[0:1], 0x0
	s_mov_b32 s11, 0
	s_lshl_b32 s10, s15, 9
	v_lshlrev_b32_e32 v1, 3, v0
	s_lshl_b64 s[12:13], s[10:11], 3
	s_mov_b32 s8, s15
	v_mbcnt_lo_u32_b32 v7, -1, 0
	s_mov_b32 s9, s11
	s_waitcnt lgkmcnt(0)
	s_lshr_b64 s[14:15], s[2:3], 9
	s_add_u32 s0, s0, s12
	s_addc_u32 s1, s1, s13
	v_add_co_u32 v5, s0, s0, v1
	s_delay_alu instid0(VALU_DEP_1)
	v_add_co_ci_u32_e64 v6, null, s1, 0, s0
	s_cmp_lg_u64 s[14:15], s[8:9]
	s_cbranch_scc0 .LBB11_6
; %bb.1:
	s_clause 0x1
	global_load_b64 v[1:2], v[5:6], off
	global_load_b64 v[3:4], v[5:6], off offset:2048
	s_mov_b32 s0, exec_lo
	s_waitcnt vmcnt(0)
	v_add_f64 v[1:2], v[1:2], v[3:4]
	s_delay_alu instid0(VALU_DEP_1) | instskip(NEXT) | instid1(VALU_DEP_2)
	v_mov_b32_dpp v3, v1 quad_perm:[1,0,3,2] row_mask:0xf bank_mask:0xf
	v_mov_b32_dpp v4, v2 quad_perm:[1,0,3,2] row_mask:0xf bank_mask:0xf
	s_delay_alu instid0(VALU_DEP_1) | instskip(NEXT) | instid1(VALU_DEP_1)
	v_add_f64 v[1:2], v[1:2], v[3:4]
	v_mov_b32_dpp v3, v1 quad_perm:[2,3,0,1] row_mask:0xf bank_mask:0xf
	s_delay_alu instid0(VALU_DEP_2) | instskip(NEXT) | instid1(VALU_DEP_1)
	v_mov_b32_dpp v4, v2 quad_perm:[2,3,0,1] row_mask:0xf bank_mask:0xf
	v_add_f64 v[1:2], v[1:2], v[3:4]
	s_delay_alu instid0(VALU_DEP_1) | instskip(NEXT) | instid1(VALU_DEP_2)
	v_mov_b32_dpp v3, v1 row_ror:4 row_mask:0xf bank_mask:0xf
	v_mov_b32_dpp v4, v2 row_ror:4 row_mask:0xf bank_mask:0xf
	s_delay_alu instid0(VALU_DEP_1) | instskip(NEXT) | instid1(VALU_DEP_1)
	v_add_f64 v[1:2], v[1:2], v[3:4]
	v_mov_b32_dpp v3, v1 row_ror:8 row_mask:0xf bank_mask:0xf
	s_delay_alu instid0(VALU_DEP_2) | instskip(NEXT) | instid1(VALU_DEP_1)
	v_mov_b32_dpp v4, v2 row_ror:8 row_mask:0xf bank_mask:0xf
	v_add_f64 v[1:2], v[1:2], v[3:4]
	ds_swizzle_b32 v3, v1 offset:swizzle(BROADCAST,32,15)
	ds_swizzle_b32 v4, v2 offset:swizzle(BROADCAST,32,15)
	s_waitcnt lgkmcnt(0)
	v_add_f64 v[1:2], v[1:2], v[3:4]
	v_mov_b32_e32 v3, 0
	ds_bpermute_b32 v1, v3, v1 offset:124
	ds_bpermute_b32 v2, v3, v2 offset:124
	v_cmpx_eq_u32_e32 0, v7
	s_cbranch_execz .LBB11_3
; %bb.2:
	v_lshrrev_b32_e32 v3, 2, v0
	s_delay_alu instid0(VALU_DEP_1)
	v_and_b32_e32 v3, 56, v3
	s_waitcnt lgkmcnt(0)
	ds_store_b64 v3, v[1:2]
.LBB11_3:
	s_or_b32 exec_lo, exec_lo, s0
	s_delay_alu instid0(SALU_CYCLE_1)
	s_mov_b32 s0, exec_lo
	s_waitcnt lgkmcnt(0)
	s_barrier
	buffer_gl0_inv
	v_cmpx_gt_u32_e32 32, v0
	s_cbranch_execz .LBB11_5
; %bb.4:
	v_and_b32_e32 v8, 7, v7
	s_delay_alu instid0(VALU_DEP_1) | instskip(SKIP_4) | instid1(VALU_DEP_2)
	v_lshlrev_b32_e32 v1, 3, v8
	v_cmp_ne_u32_e32 vcc_lo, 7, v8
	ds_load_b64 v[1:2], v1
	v_add_co_ci_u32_e32 v3, vcc_lo, 0, v7, vcc_lo
	v_cmp_gt_u32_e32 vcc_lo, 6, v8
	v_lshlrev_b32_e32 v4, 2, v3
	s_waitcnt lgkmcnt(0)
	ds_bpermute_b32 v3, v4, v1
	ds_bpermute_b32 v4, v4, v2
	s_waitcnt lgkmcnt(0)
	v_add_f64 v[1:2], v[1:2], v[3:4]
	v_cndmask_b32_e64 v3, 0, 1, vcc_lo
	v_cmp_gt_u32_e32 vcc_lo, 4, v8
	s_delay_alu instid0(VALU_DEP_2) | instskip(NEXT) | instid1(VALU_DEP_1)
	v_lshlrev_b32_e32 v3, 1, v3
	v_add_lshl_u32 v4, v3, v7, 2
	ds_bpermute_b32 v3, v4, v1
	ds_bpermute_b32 v4, v4, v2
	s_waitcnt lgkmcnt(0)
	v_add_f64 v[1:2], v[1:2], v[3:4]
	v_cndmask_b32_e64 v3, 0, 1, vcc_lo
	s_delay_alu instid0(VALU_DEP_1) | instskip(NEXT) | instid1(VALU_DEP_1)
	v_lshlrev_b32_e32 v3, 2, v3
	v_add_lshl_u32 v4, v3, v7, 2
	ds_bpermute_b32 v3, v4, v1
	ds_bpermute_b32 v4, v4, v2
	s_waitcnt lgkmcnt(0)
	v_add_f64 v[1:2], v[1:2], v[3:4]
.LBB11_5:
	s_or_b32 exec_lo, exec_lo, s0
	s_branch .LBB11_32
.LBB11_6:
                                        ; implicit-def: $vgpr1_vgpr2
	s_cbranch_execz .LBB11_32
; %bb.7:
	s_sub_i32 s1, s2, s10
	s_mov_b32 s0, exec_lo
                                        ; implicit-def: $vgpr1_vgpr2_vgpr3_vgpr4
	v_cmpx_gt_u32_e64 s1, v0
	s_cbranch_execz .LBB11_9
; %bb.8:
	global_load_b64 v[1:2], v[5:6], off
.LBB11_9:
	s_or_b32 exec_lo, exec_lo, s0
	v_or_b32_e32 v8, 0x100, v0
	s_delay_alu instid0(VALU_DEP_1)
	v_cmp_gt_u32_e32 vcc_lo, s1, v8
	s_and_saveexec_b32 s0, vcc_lo
	s_cbranch_execz .LBB11_11
; %bb.10:
	global_load_b64 v[3:4], v[5:6], off offset:2048
.LBB11_11:
	s_or_b32 exec_lo, exec_lo, s0
	s_waitcnt vmcnt(0)
	v_add_f64 v[3:4], v[1:2], v[3:4]
	v_cmp_ne_u32_e64 s0, 31, v7
	v_add_nc_u32_e32 v6, 1, v7
	s_delay_alu instid0(VALU_DEP_2) | instskip(SKIP_2) | instid1(VALU_DEP_1)
	v_add_co_ci_u32_e64 v5, s0, 0, v7, s0
	s_min_u32 s0, s1, 0x100
	s_mov_b32 s1, exec_lo
	v_dual_cndmask_b32 v2, v2, v4 :: v_dual_lshlrev_b32 v5, 2, v5
	v_cndmask_b32_e32 v1, v1, v3, vcc_lo
	ds_bpermute_b32 v4, v5, v2
	ds_bpermute_b32 v3, v5, v1
	v_and_b32_e32 v5, 0xe0, v0
	s_delay_alu instid0(VALU_DEP_1) | instskip(NEXT) | instid1(VALU_DEP_1)
	v_sub_nc_u32_e64 v5, s0, v5 clamp
	v_cmpx_lt_u32_e64 v6, v5
	s_cbranch_execz .LBB11_13
; %bb.12:
	s_waitcnt lgkmcnt(0)
	v_add_f64 v[1:2], v[1:2], v[3:4]
.LBB11_13:
	s_or_b32 exec_lo, exec_lo, s1
	v_cmp_gt_u32_e32 vcc_lo, 30, v7
	v_add_nc_u32_e32 v6, 2, v7
	s_mov_b32 s1, exec_lo
	s_waitcnt lgkmcnt(0)
	v_cndmask_b32_e64 v3, 0, 1, vcc_lo
	s_delay_alu instid0(VALU_DEP_1) | instskip(NEXT) | instid1(VALU_DEP_1)
	v_lshlrev_b32_e32 v3, 1, v3
	v_add_lshl_u32 v4, v3, v7, 2
	ds_bpermute_b32 v3, v4, v1
	ds_bpermute_b32 v4, v4, v2
	v_cmpx_lt_u32_e64 v6, v5
	s_cbranch_execz .LBB11_15
; %bb.14:
	s_waitcnt lgkmcnt(0)
	v_add_f64 v[1:2], v[1:2], v[3:4]
.LBB11_15:
	s_or_b32 exec_lo, exec_lo, s1
	v_cmp_gt_u32_e32 vcc_lo, 28, v7
	v_add_nc_u32_e32 v6, 4, v7
	s_mov_b32 s1, exec_lo
	s_waitcnt lgkmcnt(1)
	v_cndmask_b32_e64 v3, 0, 1, vcc_lo
	s_delay_alu instid0(VALU_DEP_1) | instskip(SKIP_1) | instid1(VALU_DEP_1)
	v_lshlrev_b32_e32 v3, 2, v3
	s_waitcnt lgkmcnt(0)
	v_add_lshl_u32 v4, v3, v7, 2
	ds_bpermute_b32 v3, v4, v1
	ds_bpermute_b32 v4, v4, v2
	v_cmpx_lt_u32_e64 v6, v5
	s_cbranch_execz .LBB11_17
; %bb.16:
	s_waitcnt lgkmcnt(0)
	v_add_f64 v[1:2], v[1:2], v[3:4]
.LBB11_17:
	s_or_b32 exec_lo, exec_lo, s1
	v_cmp_gt_u32_e32 vcc_lo, 24, v7
	v_add_nc_u32_e32 v6, 8, v7
	s_mov_b32 s1, exec_lo
	s_waitcnt lgkmcnt(1)
	v_cndmask_b32_e64 v3, 0, 1, vcc_lo
	s_delay_alu instid0(VALU_DEP_1) | instskip(SKIP_1) | instid1(VALU_DEP_1)
	v_lshlrev_b32_e32 v3, 3, v3
	s_waitcnt lgkmcnt(0)
	;; [unrolled: 18-line block ×3, first 2 shown]
	v_add_lshl_u32 v4, v3, v7, 2
	ds_bpermute_b32 v3, v4, v1
	ds_bpermute_b32 v4, v4, v2
	v_cmpx_lt_u32_e64 v6, v5
	s_cbranch_execz .LBB11_21
; %bb.20:
	s_waitcnt lgkmcnt(0)
	v_add_f64 v[1:2], v[1:2], v[3:4]
.LBB11_21:
	s_or_b32 exec_lo, exec_lo, s1
	s_delay_alu instid0(SALU_CYCLE_1)
	s_mov_b32 s1, exec_lo
	v_cmpx_eq_u32_e32 0, v7
	s_cbranch_execz .LBB11_23
; %bb.22:
	s_waitcnt lgkmcnt(1)
	v_lshrrev_b32_e32 v3, 2, v0
	s_delay_alu instid0(VALU_DEP_1)
	v_and_b32_e32 v3, 56, v3
	ds_store_b64 v3, v[1:2] offset:64
.LBB11_23:
	s_or_b32 exec_lo, exec_lo, s1
	s_delay_alu instid0(SALU_CYCLE_1)
	s_mov_b32 s1, exec_lo
	s_waitcnt lgkmcnt(0)
	s_barrier
	buffer_gl0_inv
	v_cmpx_gt_u32_e32 8, v0
	s_cbranch_execz .LBB11_31
; %bb.24:
	v_lshlrev_b32_e32 v1, 3, v7
	v_and_b32_e32 v5, 7, v7
	s_add_i32 s0, s0, 31
	s_mov_b32 s10, exec_lo
	s_lshr_b32 s0, s0, 5
	ds_load_b64 v[1:2], v1 offset:64
	v_cmp_ne_u32_e32 vcc_lo, 7, v5
	v_add_nc_u32_e32 v6, 1, v5
	v_add_co_ci_u32_e32 v3, vcc_lo, 0, v7, vcc_lo
	s_delay_alu instid0(VALU_DEP_1)
	v_lshlrev_b32_e32 v4, 2, v3
	s_waitcnt lgkmcnt(0)
	ds_bpermute_b32 v3, v4, v1
	ds_bpermute_b32 v4, v4, v2
	v_cmpx_gt_u32_e64 s0, v6
	s_cbranch_execz .LBB11_26
; %bb.25:
	s_waitcnt lgkmcnt(0)
	v_add_f64 v[1:2], v[1:2], v[3:4]
.LBB11_26:
	s_or_b32 exec_lo, exec_lo, s10
	v_cmp_gt_u32_e32 vcc_lo, 6, v5
	v_add_nc_u32_e32 v6, 2, v5
	s_mov_b32 s10, exec_lo
	s_waitcnt lgkmcnt(1)
	v_cndmask_b32_e64 v3, 0, 1, vcc_lo
	s_delay_alu instid0(VALU_DEP_1) | instskip(SKIP_1) | instid1(VALU_DEP_1)
	v_lshlrev_b32_e32 v3, 1, v3
	s_waitcnt lgkmcnt(0)
	v_add_lshl_u32 v4, v3, v7, 2
	ds_bpermute_b32 v3, v4, v1
	ds_bpermute_b32 v4, v4, v2
	v_cmpx_gt_u32_e64 s0, v6
	s_cbranch_execz .LBB11_28
; %bb.27:
	s_waitcnt lgkmcnt(0)
	v_add_f64 v[1:2], v[1:2], v[3:4]
.LBB11_28:
	s_or_b32 exec_lo, exec_lo, s10
	v_cmp_gt_u32_e32 vcc_lo, 4, v5
	v_add_nc_u32_e32 v5, 4, v5
	s_waitcnt lgkmcnt(1)
	v_cndmask_b32_e64 v3, 0, 1, vcc_lo
	s_delay_alu instid0(VALU_DEP_2) | instskip(NEXT) | instid1(VALU_DEP_2)
	v_cmp_gt_u32_e32 vcc_lo, s0, v5
	v_lshlrev_b32_e32 v3, 2, v3
	s_waitcnt lgkmcnt(0)
	s_delay_alu instid0(VALU_DEP_1)
	v_add_lshl_u32 v4, v3, v7, 2
	ds_bpermute_b32 v3, v4, v1
	ds_bpermute_b32 v4, v4, v2
	s_and_saveexec_b32 s0, vcc_lo
	s_cbranch_execz .LBB11_30
; %bb.29:
	s_waitcnt lgkmcnt(0)
	v_add_f64 v[1:2], v[1:2], v[3:4]
.LBB11_30:
	s_or_b32 exec_lo, exec_lo, s0
.LBB11_31:
	s_delay_alu instid0(SALU_CYCLE_1)
	s_or_b32 exec_lo, exec_lo, s1
.LBB11_32:
	s_delay_alu instid0(SALU_CYCLE_1)
	s_mov_b32 s0, exec_lo
	v_cmpx_eq_u32_e32 0, v0
	s_cbranch_execz .LBB11_34
; %bb.33:
	s_delay_alu instid0(VALU_DEP_2)
	v_add_f64 v[0:1], v[1:2], s[6:7]
	s_lshl_b64 s[0:1], s[8:9], 3
	v_mov_b32_e32 v2, 0
	s_add_u32 s0, s4, s0
	s_addc_u32 s1, s5, s1
	s_cmp_eq_u64 s[2:3], 0
	s_cselect_b32 s2, -1, 0
	s_delay_alu instid0(VALU_DEP_2) | instid1(SALU_CYCLE_1)
	v_cndmask_b32_e64 v1, v1, s7, s2
	s_delay_alu instid0(VALU_DEP_3)
	v_cndmask_b32_e64 v0, v0, s6, s2
	global_store_b64 v2, v[0:1], s[0:1]
.LBB11_34:
	s_nop 0
	s_sendmsg sendmsg(MSG_DEALLOC_VGPRS)
	s_endpgm
	.section	.rodata,"a",@progbits
	.p2align	6, 0x0
	.amdhsa_kernel _ZN7rocprim6detail19block_reduce_kernelILb1ELb0ELj2ENS0_21wrapped_reduce_configINS_14default_configEdEEdPdS5_dN6thrust4plusIdEEEEvT4_mT5_T6_T7_
		.amdhsa_group_segment_fixed_size 128
		.amdhsa_private_segment_fixed_size 0
		.amdhsa_kernarg_size 36
		.amdhsa_user_sgpr_count 15
		.amdhsa_user_sgpr_dispatch_ptr 0
		.amdhsa_user_sgpr_queue_ptr 0
		.amdhsa_user_sgpr_kernarg_segment_ptr 1
		.amdhsa_user_sgpr_dispatch_id 0
		.amdhsa_user_sgpr_private_segment_size 0
		.amdhsa_wavefront_size32 1
		.amdhsa_uses_dynamic_stack 0
		.amdhsa_enable_private_segment 0
		.amdhsa_system_sgpr_workgroup_id_x 1
		.amdhsa_system_sgpr_workgroup_id_y 0
		.amdhsa_system_sgpr_workgroup_id_z 0
		.amdhsa_system_sgpr_workgroup_info 0
		.amdhsa_system_vgpr_workitem_id 0
		.amdhsa_next_free_vgpr 9
		.amdhsa_next_free_sgpr 16
		.amdhsa_reserve_vcc 1
		.amdhsa_float_round_mode_32 0
		.amdhsa_float_round_mode_16_64 0
		.amdhsa_float_denorm_mode_32 3
		.amdhsa_float_denorm_mode_16_64 3
		.amdhsa_dx10_clamp 1
		.amdhsa_ieee_mode 1
		.amdhsa_fp16_overflow 0
		.amdhsa_workgroup_processor_mode 1
		.amdhsa_memory_ordered 1
		.amdhsa_forward_progress 0
		.amdhsa_shared_vgpr_count 0
		.amdhsa_exception_fp_ieee_invalid_op 0
		.amdhsa_exception_fp_denorm_src 0
		.amdhsa_exception_fp_ieee_div_zero 0
		.amdhsa_exception_fp_ieee_overflow 0
		.amdhsa_exception_fp_ieee_underflow 0
		.amdhsa_exception_fp_ieee_inexact 0
		.amdhsa_exception_int_div_zero 0
	.end_amdhsa_kernel
	.section	.text._ZN7rocprim6detail19block_reduce_kernelILb1ELb0ELj2ENS0_21wrapped_reduce_configINS_14default_configEdEEdPdS5_dN6thrust4plusIdEEEEvT4_mT5_T6_T7_,"axG",@progbits,_ZN7rocprim6detail19block_reduce_kernelILb1ELb0ELj2ENS0_21wrapped_reduce_configINS_14default_configEdEEdPdS5_dN6thrust4plusIdEEEEvT4_mT5_T6_T7_,comdat
.Lfunc_end11:
	.size	_ZN7rocprim6detail19block_reduce_kernelILb1ELb0ELj2ENS0_21wrapped_reduce_configINS_14default_configEdEEdPdS5_dN6thrust4plusIdEEEEvT4_mT5_T6_T7_, .Lfunc_end11-_ZN7rocprim6detail19block_reduce_kernelILb1ELb0ELj2ENS0_21wrapped_reduce_configINS_14default_configEdEEdPdS5_dN6thrust4plusIdEEEEvT4_mT5_T6_T7_
                                        ; -- End function
	.section	.AMDGPU.csdata,"",@progbits
; Kernel info:
; codeLenInByte = 1536
; NumSgprs: 18
; NumVgprs: 9
; ScratchSize: 0
; MemoryBound: 1
; FloatMode: 240
; IeeeMode: 1
; LDSByteSize: 128 bytes/workgroup (compile time only)
; SGPRBlocks: 2
; VGPRBlocks: 1
; NumSGPRsForWavesPerEU: 18
; NumVGPRsForWavesPerEU: 9
; Occupancy: 16
; WaveLimiterHint : 1
; COMPUTE_PGM_RSRC2:SCRATCH_EN: 0
; COMPUTE_PGM_RSRC2:USER_SGPR: 15
; COMPUTE_PGM_RSRC2:TRAP_HANDLER: 0
; COMPUTE_PGM_RSRC2:TGID_X_EN: 1
; COMPUTE_PGM_RSRC2:TGID_Y_EN: 0
; COMPUTE_PGM_RSRC2:TGID_Z_EN: 0
; COMPUTE_PGM_RSRC2:TIDIG_COMP_CNT: 0
	.section	.text._ZN7rocprim6detail19block_reduce_kernelILb1ELb0ELj1ENS0_21wrapped_reduce_configINS_14default_configEdEEdPdS5_dN6thrust4plusIdEEEEvT4_mT5_T6_T7_,"axG",@progbits,_ZN7rocprim6detail19block_reduce_kernelILb1ELb0ELj1ENS0_21wrapped_reduce_configINS_14default_configEdEEdPdS5_dN6thrust4plusIdEEEEvT4_mT5_T6_T7_,comdat
	.protected	_ZN7rocprim6detail19block_reduce_kernelILb1ELb0ELj1ENS0_21wrapped_reduce_configINS_14default_configEdEEdPdS5_dN6thrust4plusIdEEEEvT4_mT5_T6_T7_ ; -- Begin function _ZN7rocprim6detail19block_reduce_kernelILb1ELb0ELj1ENS0_21wrapped_reduce_configINS_14default_configEdEEdPdS5_dN6thrust4plusIdEEEEvT4_mT5_T6_T7_
	.globl	_ZN7rocprim6detail19block_reduce_kernelILb1ELb0ELj1ENS0_21wrapped_reduce_configINS_14default_configEdEEdPdS5_dN6thrust4plusIdEEEEvT4_mT5_T6_T7_
	.p2align	8
	.type	_ZN7rocprim6detail19block_reduce_kernelILb1ELb0ELj1ENS0_21wrapped_reduce_configINS_14default_configEdEEdPdS5_dN6thrust4plusIdEEEEvT4_mT5_T6_T7_,@function
_ZN7rocprim6detail19block_reduce_kernelILb1ELb0ELj1ENS0_21wrapped_reduce_configINS_14default_configEdEEdPdS5_dN6thrust4plusIdEEEEvT4_mT5_T6_T7_: ; @_ZN7rocprim6detail19block_reduce_kernelILb1ELb0ELj1ENS0_21wrapped_reduce_configINS_14default_configEdEEdPdS5_dN6thrust4plusIdEEEEvT4_mT5_T6_T7_
; %bb.0:
	s_load_b256 s[4:11], s[0:1], 0x0
	s_mov_b32 s1, 0
	s_lshl_b32 s0, s15, 10
	v_lshlrev_b32_e32 v1, 3, v0
	s_lshl_b64 s[2:3], s[0:1], 3
	s_mov_b32 s12, s15
	s_mov_b32 s13, s1
	v_mbcnt_lo_u32_b32 v11, -1, 0
	s_waitcnt lgkmcnt(0)
	s_lshr_b64 s[14:15], s[6:7], 10
	s_add_u32 s1, s4, s2
	s_addc_u32 s2, s5, s3
	v_add_co_u32 v9, s1, s1, v1
	s_delay_alu instid0(VALU_DEP_1)
	v_add_co_ci_u32_e64 v10, null, s2, 0, s1
	s_cmp_lg_u64 s[14:15], s[12:13]
	s_cbranch_scc0 .LBB12_6
; %bb.1:
	s_clause 0x1
	global_load_b64 v[1:2], v[9:10], off
	global_load_b64 v[3:4], v[9:10], off offset:2048
	v_add_co_u32 v5, vcc_lo, 0x1000, v9
	v_add_co_ci_u32_e32 v6, vcc_lo, 0, v10, vcc_lo
	s_mov_b32 s1, exec_lo
	s_clause 0x1
	global_load_b64 v[7:8], v[5:6], off
	global_load_b64 v[5:6], v[5:6], off offset:2048
	s_waitcnt vmcnt(2)
	v_add_f64 v[1:2], v[1:2], v[3:4]
	s_waitcnt vmcnt(1)
	s_delay_alu instid0(VALU_DEP_1) | instskip(SKIP_1) | instid1(VALU_DEP_1)
	v_add_f64 v[1:2], v[1:2], v[7:8]
	s_waitcnt vmcnt(0)
	v_add_f64 v[1:2], v[1:2], v[5:6]
	s_delay_alu instid0(VALU_DEP_1) | instskip(NEXT) | instid1(VALU_DEP_2)
	v_mov_b32_dpp v3, v1 quad_perm:[1,0,3,2] row_mask:0xf bank_mask:0xf
	v_mov_b32_dpp v4, v2 quad_perm:[1,0,3,2] row_mask:0xf bank_mask:0xf
	s_delay_alu instid0(VALU_DEP_1) | instskip(NEXT) | instid1(VALU_DEP_1)
	v_add_f64 v[1:2], v[1:2], v[3:4]
	v_mov_b32_dpp v3, v1 quad_perm:[2,3,0,1] row_mask:0xf bank_mask:0xf
	s_delay_alu instid0(VALU_DEP_2) | instskip(NEXT) | instid1(VALU_DEP_1)
	v_mov_b32_dpp v4, v2 quad_perm:[2,3,0,1] row_mask:0xf bank_mask:0xf
	v_add_f64 v[1:2], v[1:2], v[3:4]
	s_delay_alu instid0(VALU_DEP_1) | instskip(NEXT) | instid1(VALU_DEP_2)
	v_mov_b32_dpp v3, v1 row_ror:4 row_mask:0xf bank_mask:0xf
	v_mov_b32_dpp v4, v2 row_ror:4 row_mask:0xf bank_mask:0xf
	s_delay_alu instid0(VALU_DEP_1) | instskip(NEXT) | instid1(VALU_DEP_1)
	v_add_f64 v[1:2], v[1:2], v[3:4]
	v_mov_b32_dpp v3, v1 row_ror:8 row_mask:0xf bank_mask:0xf
	s_delay_alu instid0(VALU_DEP_2) | instskip(NEXT) | instid1(VALU_DEP_1)
	v_mov_b32_dpp v4, v2 row_ror:8 row_mask:0xf bank_mask:0xf
	v_add_f64 v[1:2], v[1:2], v[3:4]
	ds_swizzle_b32 v3, v1 offset:swizzle(BROADCAST,32,15)
	ds_swizzle_b32 v4, v2 offset:swizzle(BROADCAST,32,15)
	s_waitcnt lgkmcnt(0)
	v_add_f64 v[1:2], v[1:2], v[3:4]
	v_mov_b32_e32 v3, 0
	ds_bpermute_b32 v1, v3, v1 offset:124
	ds_bpermute_b32 v2, v3, v2 offset:124
	v_cmpx_eq_u32_e32 0, v11
	s_cbranch_execz .LBB12_3
; %bb.2:
	v_lshrrev_b32_e32 v3, 2, v0
	s_delay_alu instid0(VALU_DEP_1)
	v_and_b32_e32 v3, 56, v3
	s_waitcnt lgkmcnt(0)
	ds_store_b64 v3, v[1:2]
.LBB12_3:
	s_or_b32 exec_lo, exec_lo, s1
	s_delay_alu instid0(SALU_CYCLE_1)
	s_mov_b32 s1, exec_lo
	s_waitcnt lgkmcnt(0)
	s_barrier
	buffer_gl0_inv
	v_cmpx_gt_u32_e32 32, v0
	s_cbranch_execz .LBB12_5
; %bb.4:
	v_and_b32_e32 v5, 7, v11
	s_delay_alu instid0(VALU_DEP_1) | instskip(SKIP_4) | instid1(VALU_DEP_2)
	v_lshlrev_b32_e32 v1, 3, v5
	v_cmp_ne_u32_e32 vcc_lo, 7, v5
	ds_load_b64 v[1:2], v1
	v_add_co_ci_u32_e32 v3, vcc_lo, 0, v11, vcc_lo
	v_cmp_gt_u32_e32 vcc_lo, 6, v5
	v_lshlrev_b32_e32 v4, 2, v3
	s_waitcnt lgkmcnt(0)
	ds_bpermute_b32 v3, v4, v1
	ds_bpermute_b32 v4, v4, v2
	s_waitcnt lgkmcnt(0)
	v_add_f64 v[1:2], v[1:2], v[3:4]
	v_cndmask_b32_e64 v3, 0, 1, vcc_lo
	v_cmp_gt_u32_e32 vcc_lo, 4, v5
	s_delay_alu instid0(VALU_DEP_2) | instskip(NEXT) | instid1(VALU_DEP_1)
	v_lshlrev_b32_e32 v3, 1, v3
	v_add_lshl_u32 v4, v3, v11, 2
	ds_bpermute_b32 v3, v4, v1
	ds_bpermute_b32 v4, v4, v2
	s_waitcnt lgkmcnt(0)
	v_add_f64 v[1:2], v[1:2], v[3:4]
	v_cndmask_b32_e64 v3, 0, 1, vcc_lo
	s_delay_alu instid0(VALU_DEP_1) | instskip(NEXT) | instid1(VALU_DEP_1)
	v_lshlrev_b32_e32 v3, 2, v3
	v_add_lshl_u32 v4, v3, v11, 2
	ds_bpermute_b32 v3, v4, v1
	ds_bpermute_b32 v4, v4, v2
	s_waitcnt lgkmcnt(0)
	v_add_f64 v[1:2], v[1:2], v[3:4]
.LBB12_5:
	s_or_b32 exec_lo, exec_lo, s1
	s_branch .LBB12_36
.LBB12_6:
                                        ; implicit-def: $vgpr1_vgpr2
	s_cbranch_execz .LBB12_36
; %bb.7:
	s_sub_i32 s3, s6, s0
	s_mov_b32 s0, exec_lo
                                        ; implicit-def: $vgpr1_vgpr2_vgpr3_vgpr4_vgpr5_vgpr6_vgpr7_vgpr8
	v_cmpx_gt_u32_e64 s3, v0
	s_cbranch_execz .LBB12_9
; %bb.8:
	global_load_b64 v[1:2], v[9:10], off
.LBB12_9:
	s_or_b32 exec_lo, exec_lo, s0
	v_or_b32_e32 v12, 0x100, v0
	s_delay_alu instid0(VALU_DEP_1)
	v_cmp_gt_u32_e32 vcc_lo, s3, v12
	s_and_saveexec_b32 s0, vcc_lo
	s_cbranch_execz .LBB12_11
; %bb.10:
	global_load_b64 v[3:4], v[9:10], off offset:2048
.LBB12_11:
	s_or_b32 exec_lo, exec_lo, s0
	v_or_b32_e32 v12, 0x200, v0
	s_delay_alu instid0(VALU_DEP_1) | instskip(NEXT) | instid1(VALU_DEP_1)
	v_cmp_gt_u32_e64 s0, s3, v12
	s_and_saveexec_b32 s2, s0
	s_cbranch_execz .LBB12_13
; %bb.12:
	v_add_co_u32 v5, s1, 0x1000, v9
	s_delay_alu instid0(VALU_DEP_1)
	v_add_co_ci_u32_e64 v6, s1, 0, v10, s1
	global_load_b64 v[5:6], v[5:6], off
.LBB12_13:
	s_or_b32 exec_lo, exec_lo, s2
	v_or_b32_e32 v12, 0x300, v0
	s_delay_alu instid0(VALU_DEP_1) | instskip(NEXT) | instid1(VALU_DEP_1)
	v_cmp_gt_u32_e64 s1, s3, v12
	s_and_saveexec_b32 s4, s1
	s_cbranch_execz .LBB12_15
; %bb.14:
	v_add_co_u32 v7, s2, 0x1000, v9
	s_delay_alu instid0(VALU_DEP_1)
	v_add_co_ci_u32_e64 v8, s2, 0, v10, s2
	global_load_b64 v[7:8], v[7:8], off offset:2048
.LBB12_15:
	s_or_b32 exec_lo, exec_lo, s4
	s_waitcnt vmcnt(0)
	v_add_f64 v[3:4], v[1:2], v[3:4]
	s_delay_alu instid0(VALU_DEP_1) | instskip(SKIP_1) | instid1(VALU_DEP_2)
	v_dual_cndmask_b32 v2, v2, v4 :: v_dual_cndmask_b32 v1, v1, v3
	v_cmp_ne_u32_e32 vcc_lo, 31, v11
	v_add_f64 v[3:4], v[5:6], v[1:2]
	v_add_co_ci_u32_e32 v5, vcc_lo, 0, v11, vcc_lo
	v_add_nc_u32_e32 v6, 1, v11
	s_delay_alu instid0(VALU_DEP_2) | instskip(NEXT) | instid1(VALU_DEP_4)
	v_lshlrev_b32_e32 v5, 2, v5
	v_cndmask_b32_e64 v2, v2, v4, s0
	v_cndmask_b32_e64 v1, v1, v3, s0
	s_min_u32 s0, s3, 0x100
	s_delay_alu instid0(VALU_DEP_1) | instskip(NEXT) | instid1(VALU_DEP_1)
	v_add_f64 v[3:4], v[7:8], v[1:2]
	v_cndmask_b32_e64 v1, v1, v3, s1
	s_delay_alu instid0(VALU_DEP_2) | instskip(SKIP_4) | instid1(VALU_DEP_1)
	v_cndmask_b32_e64 v2, v2, v4, s1
	s_mov_b32 s1, exec_lo
	ds_bpermute_b32 v3, v5, v1
	ds_bpermute_b32 v4, v5, v2
	v_and_b32_e32 v5, 0xe0, v0
	v_sub_nc_u32_e64 v5, s0, v5 clamp
	s_delay_alu instid0(VALU_DEP_1)
	v_cmpx_lt_u32_e64 v6, v5
	s_cbranch_execz .LBB12_17
; %bb.16:
	s_waitcnt lgkmcnt(0)
	v_add_f64 v[1:2], v[1:2], v[3:4]
.LBB12_17:
	s_or_b32 exec_lo, exec_lo, s1
	v_cmp_gt_u32_e32 vcc_lo, 30, v11
	v_add_nc_u32_e32 v6, 2, v11
	s_mov_b32 s1, exec_lo
	s_waitcnt lgkmcnt(1)
	v_cndmask_b32_e64 v3, 0, 1, vcc_lo
	s_delay_alu instid0(VALU_DEP_1) | instskip(SKIP_1) | instid1(VALU_DEP_1)
	v_lshlrev_b32_e32 v3, 1, v3
	s_waitcnt lgkmcnt(0)
	v_add_lshl_u32 v4, v3, v11, 2
	ds_bpermute_b32 v3, v4, v1
	ds_bpermute_b32 v4, v4, v2
	v_cmpx_lt_u32_e64 v6, v5
	s_cbranch_execz .LBB12_19
; %bb.18:
	s_waitcnt lgkmcnt(0)
	v_add_f64 v[1:2], v[1:2], v[3:4]
.LBB12_19:
	s_or_b32 exec_lo, exec_lo, s1
	v_cmp_gt_u32_e32 vcc_lo, 28, v11
	v_add_nc_u32_e32 v6, 4, v11
	s_mov_b32 s1, exec_lo
	s_waitcnt lgkmcnt(1)
	v_cndmask_b32_e64 v3, 0, 1, vcc_lo
	s_delay_alu instid0(VALU_DEP_1) | instskip(SKIP_1) | instid1(VALU_DEP_1)
	v_lshlrev_b32_e32 v3, 2, v3
	s_waitcnt lgkmcnt(0)
	v_add_lshl_u32 v4, v3, v11, 2
	ds_bpermute_b32 v3, v4, v1
	ds_bpermute_b32 v4, v4, v2
	;; [unrolled: 18-line block ×4, first 2 shown]
	v_cmpx_lt_u32_e64 v6, v5
	s_cbranch_execz .LBB12_25
; %bb.24:
	s_waitcnt lgkmcnt(0)
	v_add_f64 v[1:2], v[1:2], v[3:4]
.LBB12_25:
	s_or_b32 exec_lo, exec_lo, s1
	s_delay_alu instid0(SALU_CYCLE_1)
	s_mov_b32 s1, exec_lo
	v_cmpx_eq_u32_e32 0, v11
	s_cbranch_execz .LBB12_27
; %bb.26:
	s_waitcnt lgkmcnt(1)
	v_lshrrev_b32_e32 v3, 2, v0
	s_delay_alu instid0(VALU_DEP_1)
	v_and_b32_e32 v3, 56, v3
	ds_store_b64 v3, v[1:2] offset:64
.LBB12_27:
	s_or_b32 exec_lo, exec_lo, s1
	s_delay_alu instid0(SALU_CYCLE_1)
	s_mov_b32 s1, exec_lo
	s_waitcnt lgkmcnt(0)
	s_barrier
	buffer_gl0_inv
	v_cmpx_gt_u32_e32 8, v0
	s_cbranch_execz .LBB12_35
; %bb.28:
	v_lshlrev_b32_e32 v1, 3, v11
	v_and_b32_e32 v5, 7, v11
	s_add_i32 s0, s0, 31
	s_mov_b32 s2, exec_lo
	s_lshr_b32 s0, s0, 5
	ds_load_b64 v[1:2], v1 offset:64
	v_cmp_ne_u32_e32 vcc_lo, 7, v5
	v_add_nc_u32_e32 v6, 1, v5
	v_add_co_ci_u32_e32 v3, vcc_lo, 0, v11, vcc_lo
	s_delay_alu instid0(VALU_DEP_1)
	v_lshlrev_b32_e32 v4, 2, v3
	s_waitcnt lgkmcnt(0)
	ds_bpermute_b32 v3, v4, v1
	ds_bpermute_b32 v4, v4, v2
	v_cmpx_gt_u32_e64 s0, v6
	s_cbranch_execz .LBB12_30
; %bb.29:
	s_waitcnt lgkmcnt(0)
	v_add_f64 v[1:2], v[1:2], v[3:4]
.LBB12_30:
	s_or_b32 exec_lo, exec_lo, s2
	v_cmp_gt_u32_e32 vcc_lo, 6, v5
	v_add_nc_u32_e32 v6, 2, v5
	s_mov_b32 s2, exec_lo
	s_waitcnt lgkmcnt(1)
	v_cndmask_b32_e64 v3, 0, 1, vcc_lo
	s_delay_alu instid0(VALU_DEP_1) | instskip(SKIP_1) | instid1(VALU_DEP_1)
	v_lshlrev_b32_e32 v3, 1, v3
	s_waitcnt lgkmcnt(0)
	v_add_lshl_u32 v4, v3, v11, 2
	ds_bpermute_b32 v3, v4, v1
	ds_bpermute_b32 v4, v4, v2
	v_cmpx_gt_u32_e64 s0, v6
	s_cbranch_execz .LBB12_32
; %bb.31:
	s_waitcnt lgkmcnt(0)
	v_add_f64 v[1:2], v[1:2], v[3:4]
.LBB12_32:
	s_or_b32 exec_lo, exec_lo, s2
	v_cmp_gt_u32_e32 vcc_lo, 4, v5
	v_add_nc_u32_e32 v5, 4, v5
	s_waitcnt lgkmcnt(1)
	v_cndmask_b32_e64 v3, 0, 1, vcc_lo
	s_delay_alu instid0(VALU_DEP_2) | instskip(NEXT) | instid1(VALU_DEP_2)
	v_cmp_gt_u32_e32 vcc_lo, s0, v5
	v_lshlrev_b32_e32 v3, 2, v3
	s_waitcnt lgkmcnt(0)
	s_delay_alu instid0(VALU_DEP_1)
	v_add_lshl_u32 v4, v3, v11, 2
	ds_bpermute_b32 v3, v4, v1
	ds_bpermute_b32 v4, v4, v2
	s_and_saveexec_b32 s0, vcc_lo
	s_cbranch_execz .LBB12_34
; %bb.33:
	s_waitcnt lgkmcnt(0)
	v_add_f64 v[1:2], v[1:2], v[3:4]
.LBB12_34:
	s_or_b32 exec_lo, exec_lo, s0
.LBB12_35:
	s_delay_alu instid0(SALU_CYCLE_1)
	s_or_b32 exec_lo, exec_lo, s1
.LBB12_36:
	s_delay_alu instid0(SALU_CYCLE_1)
	s_mov_b32 s0, exec_lo
	v_cmpx_eq_u32_e32 0, v0
	s_cbranch_execz .LBB12_38
; %bb.37:
	s_delay_alu instid0(VALU_DEP_2)
	v_add_f64 v[0:1], v[1:2], s[10:11]
	s_lshl_b64 s[0:1], s[12:13], 3
	v_mov_b32_e32 v2, 0
	s_add_u32 s0, s8, s0
	s_addc_u32 s1, s9, s1
	s_cmp_eq_u64 s[6:7], 0
	s_cselect_b32 s2, -1, 0
	s_delay_alu instid0(VALU_DEP_2) | instid1(SALU_CYCLE_1)
	v_cndmask_b32_e64 v1, v1, s11, s2
	s_delay_alu instid0(VALU_DEP_3)
	v_cndmask_b32_e64 v0, v0, s10, s2
	global_store_b64 v2, v[0:1], s[0:1]
.LBB12_38:
	s_nop 0
	s_sendmsg sendmsg(MSG_DEALLOC_VGPRS)
	s_endpgm
	.section	.rodata,"a",@progbits
	.p2align	6, 0x0
	.amdhsa_kernel _ZN7rocprim6detail19block_reduce_kernelILb1ELb0ELj1ENS0_21wrapped_reduce_configINS_14default_configEdEEdPdS5_dN6thrust4plusIdEEEEvT4_mT5_T6_T7_
		.amdhsa_group_segment_fixed_size 128
		.amdhsa_private_segment_fixed_size 0
		.amdhsa_kernarg_size 36
		.amdhsa_user_sgpr_count 15
		.amdhsa_user_sgpr_dispatch_ptr 0
		.amdhsa_user_sgpr_queue_ptr 0
		.amdhsa_user_sgpr_kernarg_segment_ptr 1
		.amdhsa_user_sgpr_dispatch_id 0
		.amdhsa_user_sgpr_private_segment_size 0
		.amdhsa_wavefront_size32 1
		.amdhsa_uses_dynamic_stack 0
		.amdhsa_enable_private_segment 0
		.amdhsa_system_sgpr_workgroup_id_x 1
		.amdhsa_system_sgpr_workgroup_id_y 0
		.amdhsa_system_sgpr_workgroup_id_z 0
		.amdhsa_system_sgpr_workgroup_info 0
		.amdhsa_system_vgpr_workitem_id 0
		.amdhsa_next_free_vgpr 13
		.amdhsa_next_free_sgpr 16
		.amdhsa_reserve_vcc 1
		.amdhsa_float_round_mode_32 0
		.amdhsa_float_round_mode_16_64 0
		.amdhsa_float_denorm_mode_32 3
		.amdhsa_float_denorm_mode_16_64 3
		.amdhsa_dx10_clamp 1
		.amdhsa_ieee_mode 1
		.amdhsa_fp16_overflow 0
		.amdhsa_workgroup_processor_mode 1
		.amdhsa_memory_ordered 1
		.amdhsa_forward_progress 0
		.amdhsa_shared_vgpr_count 0
		.amdhsa_exception_fp_ieee_invalid_op 0
		.amdhsa_exception_fp_denorm_src 0
		.amdhsa_exception_fp_ieee_div_zero 0
		.amdhsa_exception_fp_ieee_overflow 0
		.amdhsa_exception_fp_ieee_underflow 0
		.amdhsa_exception_fp_ieee_inexact 0
		.amdhsa_exception_int_div_zero 0
	.end_amdhsa_kernel
	.section	.text._ZN7rocprim6detail19block_reduce_kernelILb1ELb0ELj1ENS0_21wrapped_reduce_configINS_14default_configEdEEdPdS5_dN6thrust4plusIdEEEEvT4_mT5_T6_T7_,"axG",@progbits,_ZN7rocprim6detail19block_reduce_kernelILb1ELb0ELj1ENS0_21wrapped_reduce_configINS_14default_configEdEEdPdS5_dN6thrust4plusIdEEEEvT4_mT5_T6_T7_,comdat
.Lfunc_end12:
	.size	_ZN7rocprim6detail19block_reduce_kernelILb1ELb0ELj1ENS0_21wrapped_reduce_configINS_14default_configEdEEdPdS5_dN6thrust4plusIdEEEEvT4_mT5_T6_T7_, .Lfunc_end12-_ZN7rocprim6detail19block_reduce_kernelILb1ELb0ELj1ENS0_21wrapped_reduce_configINS_14default_configEdEEdPdS5_dN6thrust4plusIdEEEEvT4_mT5_T6_T7_
                                        ; -- End function
	.section	.AMDGPU.csdata,"",@progbits
; Kernel info:
; codeLenInByte = 1784
; NumSgprs: 18
; NumVgprs: 13
; ScratchSize: 0
; MemoryBound: 1
; FloatMode: 240
; IeeeMode: 1
; LDSByteSize: 128 bytes/workgroup (compile time only)
; SGPRBlocks: 2
; VGPRBlocks: 1
; NumSGPRsForWavesPerEU: 18
; NumVGPRsForWavesPerEU: 13
; Occupancy: 16
; WaveLimiterHint : 1
; COMPUTE_PGM_RSRC2:SCRATCH_EN: 0
; COMPUTE_PGM_RSRC2:USER_SGPR: 15
; COMPUTE_PGM_RSRC2:TRAP_HANDLER: 0
; COMPUTE_PGM_RSRC2:TGID_X_EN: 1
; COMPUTE_PGM_RSRC2:TGID_Y_EN: 0
; COMPUTE_PGM_RSRC2:TGID_Z_EN: 0
; COMPUTE_PGM_RSRC2:TIDIG_COMP_CNT: 0
	.section	.text._ZN7rocprim6detail19block_reduce_kernelILb0ELb1ELj1ENS0_21wrapped_reduce_configINS_14default_configEdEEdN6thrust11hip_rocprim26transform_input_iterator_tIdNS5_6detail15normal_iteratorINS5_10device_ptrIdEEEEZ4mainEUldE_EEPddNS5_4plusIdEEEEvT4_mT5_T6_T7_,"axG",@progbits,_ZN7rocprim6detail19block_reduce_kernelILb0ELb1ELj1ENS0_21wrapped_reduce_configINS_14default_configEdEEdN6thrust11hip_rocprim26transform_input_iterator_tIdNS5_6detail15normal_iteratorINS5_10device_ptrIdEEEEZ4mainEUldE_EEPddNS5_4plusIdEEEEvT4_mT5_T6_T7_,comdat
	.globl	_ZN7rocprim6detail19block_reduce_kernelILb0ELb1ELj1ENS0_21wrapped_reduce_configINS_14default_configEdEEdN6thrust11hip_rocprim26transform_input_iterator_tIdNS5_6detail15normal_iteratorINS5_10device_ptrIdEEEEZ4mainEUldE_EEPddNS5_4plusIdEEEEvT4_mT5_T6_T7_ ; -- Begin function _ZN7rocprim6detail19block_reduce_kernelILb0ELb1ELj1ENS0_21wrapped_reduce_configINS_14default_configEdEEdN6thrust11hip_rocprim26transform_input_iterator_tIdNS5_6detail15normal_iteratorINS5_10device_ptrIdEEEEZ4mainEUldE_EEPddNS5_4plusIdEEEEvT4_mT5_T6_T7_
	.p2align	8
	.type	_ZN7rocprim6detail19block_reduce_kernelILb0ELb1ELj1ENS0_21wrapped_reduce_configINS_14default_configEdEEdN6thrust11hip_rocprim26transform_input_iterator_tIdNS5_6detail15normal_iteratorINS5_10device_ptrIdEEEEZ4mainEUldE_EEPddNS5_4plusIdEEEEvT4_mT5_T6_T7_,@function
_ZN7rocprim6detail19block_reduce_kernelILb0ELb1ELj1ENS0_21wrapped_reduce_configINS_14default_configEdEEdN6thrust11hip_rocprim26transform_input_iterator_tIdNS5_6detail15normal_iteratorINS5_10device_ptrIdEEEEZ4mainEUldE_EEPddNS5_4plusIdEEEEvT4_mT5_T6_T7_: ; @_ZN7rocprim6detail19block_reduce_kernelILb0ELb1ELj1ENS0_21wrapped_reduce_configINS_14default_configEdEEdN6thrust11hip_rocprim26transform_input_iterator_tIdNS5_6detail15normal_iteratorINS5_10device_ptrIdEEEEZ4mainEUldE_EEPddNS5_4plusIdEEEEvT4_mT5_T6_T7_
; %bb.0:
	s_clause 0x2
	s_load_b128 s[4:7], s[0:1], 0x10
	s_load_b64 s[2:3], s[0:1], 0x0
	s_load_b64 s[8:9], s[0:1], 0x20
	s_mov_b32 s1, 0
	s_lshl_b32 s0, s15, 10
	v_lshlrev_b32_e32 v1, 3, v0
	s_lshl_b64 s[12:13], s[0:1], 3
	s_mov_b32 s10, s15
	s_mov_b32 s11, s1
	v_mbcnt_lo_u32_b32 v11, -1, 0
	s_waitcnt lgkmcnt(0)
	s_lshr_b64 s[14:15], s[4:5], 10
	s_add_u32 s1, s2, s12
	s_addc_u32 s2, s3, s13
	v_add_co_u32 v9, s1, s1, v1
	s_delay_alu instid0(VALU_DEP_1)
	v_add_co_ci_u32_e64 v10, null, s2, 0, s1
	s_cmp_lg_u64 s[14:15], s[10:11]
	s_cbranch_scc0 .LBB13_6
; %bb.1:
	s_clause 0x1
	global_load_b64 v[1:2], v[9:10], off
	global_load_b64 v[3:4], v[9:10], off offset:2048
	v_add_co_u32 v5, vcc_lo, 0x1000, v9
	v_add_co_ci_u32_e32 v6, vcc_lo, 0, v10, vcc_lo
	s_mov_b32 s1, exec_lo
	s_clause 0x1
	global_load_b64 v[7:8], v[5:6], off
	global_load_b64 v[5:6], v[5:6], off offset:2048
	s_waitcnt vmcnt(2)
	v_add_f64 v[1:2], |v[1:2]|, |v[3:4]|
	s_waitcnt vmcnt(1)
	s_delay_alu instid0(VALU_DEP_1) | instskip(SKIP_1) | instid1(VALU_DEP_1)
	v_add_f64 v[1:2], v[1:2], |v[7:8]|
	s_waitcnt vmcnt(0)
	v_add_f64 v[1:2], v[1:2], |v[5:6]|
	s_delay_alu instid0(VALU_DEP_1) | instskip(NEXT) | instid1(VALU_DEP_2)
	v_mov_b32_dpp v3, v1 quad_perm:[1,0,3,2] row_mask:0xf bank_mask:0xf
	v_mov_b32_dpp v4, v2 quad_perm:[1,0,3,2] row_mask:0xf bank_mask:0xf
	s_delay_alu instid0(VALU_DEP_1) | instskip(NEXT) | instid1(VALU_DEP_1)
	v_add_f64 v[1:2], v[1:2], v[3:4]
	v_mov_b32_dpp v3, v1 quad_perm:[2,3,0,1] row_mask:0xf bank_mask:0xf
	s_delay_alu instid0(VALU_DEP_2) | instskip(NEXT) | instid1(VALU_DEP_1)
	v_mov_b32_dpp v4, v2 quad_perm:[2,3,0,1] row_mask:0xf bank_mask:0xf
	v_add_f64 v[1:2], v[1:2], v[3:4]
	s_delay_alu instid0(VALU_DEP_1) | instskip(NEXT) | instid1(VALU_DEP_2)
	v_mov_b32_dpp v3, v1 row_ror:4 row_mask:0xf bank_mask:0xf
	v_mov_b32_dpp v4, v2 row_ror:4 row_mask:0xf bank_mask:0xf
	s_delay_alu instid0(VALU_DEP_1) | instskip(NEXT) | instid1(VALU_DEP_1)
	v_add_f64 v[1:2], v[1:2], v[3:4]
	v_mov_b32_dpp v3, v1 row_ror:8 row_mask:0xf bank_mask:0xf
	s_delay_alu instid0(VALU_DEP_2) | instskip(NEXT) | instid1(VALU_DEP_1)
	v_mov_b32_dpp v4, v2 row_ror:8 row_mask:0xf bank_mask:0xf
	v_add_f64 v[1:2], v[1:2], v[3:4]
	ds_swizzle_b32 v3, v1 offset:swizzle(BROADCAST,32,15)
	ds_swizzle_b32 v4, v2 offset:swizzle(BROADCAST,32,15)
	s_waitcnt lgkmcnt(0)
	v_add_f64 v[1:2], v[1:2], v[3:4]
	v_mov_b32_e32 v3, 0
	ds_bpermute_b32 v1, v3, v1 offset:124
	ds_bpermute_b32 v2, v3, v2 offset:124
	v_cmpx_eq_u32_e32 0, v11
	s_cbranch_execz .LBB13_3
; %bb.2:
	v_lshrrev_b32_e32 v3, 2, v0
	s_delay_alu instid0(VALU_DEP_1)
	v_and_b32_e32 v3, 56, v3
	s_waitcnt lgkmcnt(0)
	ds_store_b64 v3, v[1:2]
.LBB13_3:
	s_or_b32 exec_lo, exec_lo, s1
	s_delay_alu instid0(SALU_CYCLE_1)
	s_mov_b32 s1, exec_lo
	s_waitcnt lgkmcnt(0)
	s_barrier
	buffer_gl0_inv
	v_cmpx_gt_u32_e32 32, v0
	s_cbranch_execz .LBB13_5
; %bb.4:
	v_and_b32_e32 v5, 7, v11
	s_delay_alu instid0(VALU_DEP_1) | instskip(SKIP_4) | instid1(VALU_DEP_2)
	v_lshlrev_b32_e32 v1, 3, v5
	v_cmp_ne_u32_e32 vcc_lo, 7, v5
	ds_load_b64 v[1:2], v1
	v_add_co_ci_u32_e32 v3, vcc_lo, 0, v11, vcc_lo
	v_cmp_gt_u32_e32 vcc_lo, 6, v5
	v_lshlrev_b32_e32 v4, 2, v3
	s_waitcnt lgkmcnt(0)
	ds_bpermute_b32 v3, v4, v1
	ds_bpermute_b32 v4, v4, v2
	s_waitcnt lgkmcnt(0)
	v_add_f64 v[1:2], v[1:2], v[3:4]
	v_cndmask_b32_e64 v3, 0, 1, vcc_lo
	v_cmp_gt_u32_e32 vcc_lo, 4, v5
	s_delay_alu instid0(VALU_DEP_2) | instskip(NEXT) | instid1(VALU_DEP_1)
	v_lshlrev_b32_e32 v3, 1, v3
	v_add_lshl_u32 v4, v3, v11, 2
	ds_bpermute_b32 v3, v4, v1
	ds_bpermute_b32 v4, v4, v2
	s_waitcnt lgkmcnt(0)
	v_add_f64 v[1:2], v[1:2], v[3:4]
	v_cndmask_b32_e64 v3, 0, 1, vcc_lo
	s_delay_alu instid0(VALU_DEP_1) | instskip(NEXT) | instid1(VALU_DEP_1)
	v_lshlrev_b32_e32 v3, 2, v3
	v_add_lshl_u32 v4, v3, v11, 2
	ds_bpermute_b32 v3, v4, v1
	ds_bpermute_b32 v4, v4, v2
	s_waitcnt lgkmcnt(0)
	v_add_f64 v[1:2], v[1:2], v[3:4]
.LBB13_5:
	s_or_b32 exec_lo, exec_lo, s1
	s_branch .LBB13_36
.LBB13_6:
                                        ; implicit-def: $vgpr1_vgpr2
	s_cbranch_execz .LBB13_36
; %bb.7:
	s_sub_i32 s3, s4, s0
	s_mov_b32 s0, exec_lo
                                        ; implicit-def: $vgpr1_vgpr2_vgpr3_vgpr4_vgpr5_vgpr6_vgpr7_vgpr8
	v_cmpx_gt_u32_e64 s3, v0
	s_cbranch_execz .LBB13_9
; %bb.8:
	global_load_b64 v[1:2], v[9:10], off
	s_waitcnt vmcnt(0)
	v_and_b32_e32 v2, 0x7fffffff, v2
.LBB13_9:
	s_or_b32 exec_lo, exec_lo, s0
	v_or_b32_e32 v12, 0x100, v0
	s_delay_alu instid0(VALU_DEP_1)
	v_cmp_gt_u32_e32 vcc_lo, s3, v12
	s_and_saveexec_b32 s0, vcc_lo
	s_cbranch_execz .LBB13_11
; %bb.10:
	global_load_b64 v[3:4], v[9:10], off offset:2048
	s_waitcnt vmcnt(0)
	v_and_b32_e32 v4, 0x7fffffff, v4
.LBB13_11:
	s_or_b32 exec_lo, exec_lo, s0
	v_or_b32_e32 v12, 0x200, v0
	s_delay_alu instid0(VALU_DEP_1) | instskip(NEXT) | instid1(VALU_DEP_1)
	v_cmp_gt_u32_e64 s0, s3, v12
	s_and_saveexec_b32 s2, s0
	s_cbranch_execz .LBB13_13
; %bb.12:
	v_add_co_u32 v5, s1, 0x1000, v9
	s_delay_alu instid0(VALU_DEP_1)
	v_add_co_ci_u32_e64 v6, s1, 0, v10, s1
	global_load_b64 v[5:6], v[5:6], off
	s_waitcnt vmcnt(0)
	v_and_b32_e32 v6, 0x7fffffff, v6
.LBB13_13:
	s_or_b32 exec_lo, exec_lo, s2
	v_or_b32_e32 v12, 0x300, v0
	s_delay_alu instid0(VALU_DEP_1) | instskip(NEXT) | instid1(VALU_DEP_1)
	v_cmp_gt_u32_e64 s1, s3, v12
	s_and_saveexec_b32 s12, s1
	s_cbranch_execz .LBB13_15
; %bb.14:
	v_add_co_u32 v7, s2, 0x1000, v9
	s_delay_alu instid0(VALU_DEP_1)
	v_add_co_ci_u32_e64 v8, s2, 0, v10, s2
	global_load_b64 v[7:8], v[7:8], off offset:2048
	s_waitcnt vmcnt(0)
	v_and_b32_e32 v8, 0x7fffffff, v8
.LBB13_15:
	s_or_b32 exec_lo, exec_lo, s12
	v_add_f64 v[3:4], v[1:2], v[3:4]
	s_delay_alu instid0(VALU_DEP_1) | instskip(SKIP_1) | instid1(VALU_DEP_2)
	v_dual_cndmask_b32 v2, v2, v4 :: v_dual_cndmask_b32 v1, v1, v3
	v_cmp_ne_u32_e32 vcc_lo, 31, v11
	v_add_f64 v[3:4], v[5:6], v[1:2]
	v_add_co_ci_u32_e32 v5, vcc_lo, 0, v11, vcc_lo
	v_add_nc_u32_e32 v6, 1, v11
	s_delay_alu instid0(VALU_DEP_2) | instskip(NEXT) | instid1(VALU_DEP_4)
	v_lshlrev_b32_e32 v5, 2, v5
	v_cndmask_b32_e64 v2, v2, v4, s0
	v_cndmask_b32_e64 v1, v1, v3, s0
	s_min_u32 s0, s3, 0x100
	s_delay_alu instid0(VALU_DEP_1) | instskip(NEXT) | instid1(VALU_DEP_1)
	v_add_f64 v[3:4], v[7:8], v[1:2]
	v_cndmask_b32_e64 v1, v1, v3, s1
	s_delay_alu instid0(VALU_DEP_2) | instskip(SKIP_4) | instid1(VALU_DEP_1)
	v_cndmask_b32_e64 v2, v2, v4, s1
	s_mov_b32 s1, exec_lo
	ds_bpermute_b32 v3, v5, v1
	ds_bpermute_b32 v4, v5, v2
	v_and_b32_e32 v5, 0xe0, v0
	v_sub_nc_u32_e64 v5, s0, v5 clamp
	s_delay_alu instid0(VALU_DEP_1)
	v_cmpx_lt_u32_e64 v6, v5
	s_cbranch_execz .LBB13_17
; %bb.16:
	s_waitcnt lgkmcnt(0)
	v_add_f64 v[1:2], v[1:2], v[3:4]
.LBB13_17:
	s_or_b32 exec_lo, exec_lo, s1
	v_cmp_gt_u32_e32 vcc_lo, 30, v11
	v_add_nc_u32_e32 v6, 2, v11
	s_mov_b32 s1, exec_lo
	s_waitcnt lgkmcnt(1)
	v_cndmask_b32_e64 v3, 0, 1, vcc_lo
	s_delay_alu instid0(VALU_DEP_1) | instskip(SKIP_1) | instid1(VALU_DEP_1)
	v_lshlrev_b32_e32 v3, 1, v3
	s_waitcnt lgkmcnt(0)
	v_add_lshl_u32 v4, v3, v11, 2
	ds_bpermute_b32 v3, v4, v1
	ds_bpermute_b32 v4, v4, v2
	v_cmpx_lt_u32_e64 v6, v5
	s_cbranch_execz .LBB13_19
; %bb.18:
	s_waitcnt lgkmcnt(0)
	v_add_f64 v[1:2], v[1:2], v[3:4]
.LBB13_19:
	s_or_b32 exec_lo, exec_lo, s1
	v_cmp_gt_u32_e32 vcc_lo, 28, v11
	v_add_nc_u32_e32 v6, 4, v11
	s_mov_b32 s1, exec_lo
	s_waitcnt lgkmcnt(1)
	v_cndmask_b32_e64 v3, 0, 1, vcc_lo
	s_delay_alu instid0(VALU_DEP_1) | instskip(SKIP_1) | instid1(VALU_DEP_1)
	v_lshlrev_b32_e32 v3, 2, v3
	s_waitcnt lgkmcnt(0)
	v_add_lshl_u32 v4, v3, v11, 2
	ds_bpermute_b32 v3, v4, v1
	ds_bpermute_b32 v4, v4, v2
	;; [unrolled: 18-line block ×4, first 2 shown]
	v_cmpx_lt_u32_e64 v6, v5
	s_cbranch_execz .LBB13_25
; %bb.24:
	s_waitcnt lgkmcnt(0)
	v_add_f64 v[1:2], v[1:2], v[3:4]
.LBB13_25:
	s_or_b32 exec_lo, exec_lo, s1
	s_delay_alu instid0(SALU_CYCLE_1)
	s_mov_b32 s1, exec_lo
	v_cmpx_eq_u32_e32 0, v11
	s_cbranch_execz .LBB13_27
; %bb.26:
	s_waitcnt lgkmcnt(1)
	v_lshrrev_b32_e32 v3, 2, v0
	s_delay_alu instid0(VALU_DEP_1)
	v_and_b32_e32 v3, 56, v3
	ds_store_b64 v3, v[1:2] offset:64
.LBB13_27:
	s_or_b32 exec_lo, exec_lo, s1
	s_delay_alu instid0(SALU_CYCLE_1)
	s_mov_b32 s1, exec_lo
	s_waitcnt lgkmcnt(0)
	s_barrier
	buffer_gl0_inv
	v_cmpx_gt_u32_e32 8, v0
	s_cbranch_execz .LBB13_35
; %bb.28:
	v_lshlrev_b32_e32 v1, 3, v11
	v_and_b32_e32 v5, 7, v11
	s_add_i32 s0, s0, 31
	s_mov_b32 s2, exec_lo
	s_lshr_b32 s0, s0, 5
	ds_load_b64 v[1:2], v1 offset:64
	v_cmp_ne_u32_e32 vcc_lo, 7, v5
	v_add_nc_u32_e32 v6, 1, v5
	v_add_co_ci_u32_e32 v3, vcc_lo, 0, v11, vcc_lo
	s_delay_alu instid0(VALU_DEP_1)
	v_lshlrev_b32_e32 v4, 2, v3
	s_waitcnt lgkmcnt(0)
	ds_bpermute_b32 v3, v4, v1
	ds_bpermute_b32 v4, v4, v2
	v_cmpx_gt_u32_e64 s0, v6
	s_cbranch_execz .LBB13_30
; %bb.29:
	s_waitcnt lgkmcnt(0)
	v_add_f64 v[1:2], v[1:2], v[3:4]
.LBB13_30:
	s_or_b32 exec_lo, exec_lo, s2
	v_cmp_gt_u32_e32 vcc_lo, 6, v5
	v_add_nc_u32_e32 v6, 2, v5
	s_mov_b32 s2, exec_lo
	s_waitcnt lgkmcnt(1)
	v_cndmask_b32_e64 v3, 0, 1, vcc_lo
	s_delay_alu instid0(VALU_DEP_1) | instskip(SKIP_1) | instid1(VALU_DEP_1)
	v_lshlrev_b32_e32 v3, 1, v3
	s_waitcnt lgkmcnt(0)
	v_add_lshl_u32 v4, v3, v11, 2
	ds_bpermute_b32 v3, v4, v1
	ds_bpermute_b32 v4, v4, v2
	v_cmpx_gt_u32_e64 s0, v6
	s_cbranch_execz .LBB13_32
; %bb.31:
	s_waitcnt lgkmcnt(0)
	v_add_f64 v[1:2], v[1:2], v[3:4]
.LBB13_32:
	s_or_b32 exec_lo, exec_lo, s2
	v_cmp_gt_u32_e32 vcc_lo, 4, v5
	v_add_nc_u32_e32 v5, 4, v5
	s_waitcnt lgkmcnt(1)
	v_cndmask_b32_e64 v3, 0, 1, vcc_lo
	s_delay_alu instid0(VALU_DEP_2) | instskip(NEXT) | instid1(VALU_DEP_2)
	v_cmp_gt_u32_e32 vcc_lo, s0, v5
	v_lshlrev_b32_e32 v3, 2, v3
	s_waitcnt lgkmcnt(0)
	s_delay_alu instid0(VALU_DEP_1)
	v_add_lshl_u32 v4, v3, v11, 2
	ds_bpermute_b32 v3, v4, v1
	ds_bpermute_b32 v4, v4, v2
	s_and_saveexec_b32 s0, vcc_lo
	s_cbranch_execz .LBB13_34
; %bb.33:
	s_waitcnt lgkmcnt(0)
	v_add_f64 v[1:2], v[1:2], v[3:4]
.LBB13_34:
	s_or_b32 exec_lo, exec_lo, s0
.LBB13_35:
	s_delay_alu instid0(SALU_CYCLE_1)
	s_or_b32 exec_lo, exec_lo, s1
.LBB13_36:
	s_delay_alu instid0(SALU_CYCLE_1)
	s_mov_b32 s0, exec_lo
	v_cmpx_eq_u32_e32 0, v0
	s_cbranch_execz .LBB13_38
; %bb.37:
	s_lshl_b64 s[0:1], s[10:11], 3
	v_mov_b32_e32 v0, 0
	s_add_u32 s0, s6, s0
	s_addc_u32 s1, s7, s1
	s_cmp_eq_u64 s[4:5], 0
	s_cselect_b32 s2, -1, 0
	s_delay_alu instid0(VALU_DEP_3) | instid1(SALU_CYCLE_1)
	v_cndmask_b32_e64 v2, v2, s9, s2
	s_delay_alu instid0(VALU_DEP_4)
	v_cndmask_b32_e64 v1, v1, s8, s2
	global_store_b64 v0, v[1:2], s[0:1]
.LBB13_38:
	s_nop 0
	s_sendmsg sendmsg(MSG_DEALLOC_VGPRS)
	s_endpgm
	.section	.rodata,"a",@progbits
	.p2align	6, 0x0
	.amdhsa_kernel _ZN7rocprim6detail19block_reduce_kernelILb0ELb1ELj1ENS0_21wrapped_reduce_configINS_14default_configEdEEdN6thrust11hip_rocprim26transform_input_iterator_tIdNS5_6detail15normal_iteratorINS5_10device_ptrIdEEEEZ4mainEUldE_EEPddNS5_4plusIdEEEEvT4_mT5_T6_T7_
		.amdhsa_group_segment_fixed_size 128
		.amdhsa_private_segment_fixed_size 0
		.amdhsa_kernarg_size 44
		.amdhsa_user_sgpr_count 15
		.amdhsa_user_sgpr_dispatch_ptr 0
		.amdhsa_user_sgpr_queue_ptr 0
		.amdhsa_user_sgpr_kernarg_segment_ptr 1
		.amdhsa_user_sgpr_dispatch_id 0
		.amdhsa_user_sgpr_private_segment_size 0
		.amdhsa_wavefront_size32 1
		.amdhsa_uses_dynamic_stack 0
		.amdhsa_enable_private_segment 0
		.amdhsa_system_sgpr_workgroup_id_x 1
		.amdhsa_system_sgpr_workgroup_id_y 0
		.amdhsa_system_sgpr_workgroup_id_z 0
		.amdhsa_system_sgpr_workgroup_info 0
		.amdhsa_system_vgpr_workitem_id 0
		.amdhsa_next_free_vgpr 13
		.amdhsa_next_free_sgpr 16
		.amdhsa_reserve_vcc 1
		.amdhsa_float_round_mode_32 0
		.amdhsa_float_round_mode_16_64 0
		.amdhsa_float_denorm_mode_32 3
		.amdhsa_float_denorm_mode_16_64 3
		.amdhsa_dx10_clamp 1
		.amdhsa_ieee_mode 1
		.amdhsa_fp16_overflow 0
		.amdhsa_workgroup_processor_mode 1
		.amdhsa_memory_ordered 1
		.amdhsa_forward_progress 0
		.amdhsa_shared_vgpr_count 0
		.amdhsa_exception_fp_ieee_invalid_op 0
		.amdhsa_exception_fp_denorm_src 0
		.amdhsa_exception_fp_ieee_div_zero 0
		.amdhsa_exception_fp_ieee_overflow 0
		.amdhsa_exception_fp_ieee_underflow 0
		.amdhsa_exception_fp_ieee_inexact 0
		.amdhsa_exception_int_div_zero 0
	.end_amdhsa_kernel
	.section	.text._ZN7rocprim6detail19block_reduce_kernelILb0ELb1ELj1ENS0_21wrapped_reduce_configINS_14default_configEdEEdN6thrust11hip_rocprim26transform_input_iterator_tIdNS5_6detail15normal_iteratorINS5_10device_ptrIdEEEEZ4mainEUldE_EEPddNS5_4plusIdEEEEvT4_mT5_T6_T7_,"axG",@progbits,_ZN7rocprim6detail19block_reduce_kernelILb0ELb1ELj1ENS0_21wrapped_reduce_configINS_14default_configEdEEdN6thrust11hip_rocprim26transform_input_iterator_tIdNS5_6detail15normal_iteratorINS5_10device_ptrIdEEEEZ4mainEUldE_EEPddNS5_4plusIdEEEEvT4_mT5_T6_T7_,comdat
.Lfunc_end13:
	.size	_ZN7rocprim6detail19block_reduce_kernelILb0ELb1ELj1ENS0_21wrapped_reduce_configINS_14default_configEdEEdN6thrust11hip_rocprim26transform_input_iterator_tIdNS5_6detail15normal_iteratorINS5_10device_ptrIdEEEEZ4mainEUldE_EEPddNS5_4plusIdEEEEvT4_mT5_T6_T7_, .Lfunc_end13-_ZN7rocprim6detail19block_reduce_kernelILb0ELb1ELj1ENS0_21wrapped_reduce_configINS_14default_configEdEEdN6thrust11hip_rocprim26transform_input_iterator_tIdNS5_6detail15normal_iteratorINS5_10device_ptrIdEEEEZ4mainEUldE_EEPddNS5_4plusIdEEEEvT4_mT5_T6_T7_
                                        ; -- End function
	.section	.AMDGPU.csdata,"",@progbits
; Kernel info:
; codeLenInByte = 1836
; NumSgprs: 18
; NumVgprs: 13
; ScratchSize: 0
; MemoryBound: 0
; FloatMode: 240
; IeeeMode: 1
; LDSByteSize: 128 bytes/workgroup (compile time only)
; SGPRBlocks: 2
; VGPRBlocks: 1
; NumSGPRsForWavesPerEU: 18
; NumVGPRsForWavesPerEU: 13
; Occupancy: 16
; WaveLimiterHint : 1
; COMPUTE_PGM_RSRC2:SCRATCH_EN: 0
; COMPUTE_PGM_RSRC2:USER_SGPR: 15
; COMPUTE_PGM_RSRC2:TRAP_HANDLER: 0
; COMPUTE_PGM_RSRC2:TGID_X_EN: 1
; COMPUTE_PGM_RSRC2:TGID_Y_EN: 0
; COMPUTE_PGM_RSRC2:TGID_Z_EN: 0
; COMPUTE_PGM_RSRC2:TIDIG_COMP_CNT: 0
	.section	.text._ZN7rocprim6detail19block_reduce_kernelILb1ELb1ELj2ENS0_21wrapped_reduce_configINS_14default_configEdEEdN6thrust11hip_rocprim26transform_input_iterator_tIdNS5_6detail15normal_iteratorINS5_10device_ptrIdEEEEZ4mainEUldE_EEPddNS5_4plusIdEEEEvT4_mT5_T6_T7_,"axG",@progbits,_ZN7rocprim6detail19block_reduce_kernelILb1ELb1ELj2ENS0_21wrapped_reduce_configINS_14default_configEdEEdN6thrust11hip_rocprim26transform_input_iterator_tIdNS5_6detail15normal_iteratorINS5_10device_ptrIdEEEEZ4mainEUldE_EEPddNS5_4plusIdEEEEvT4_mT5_T6_T7_,comdat
	.globl	_ZN7rocprim6detail19block_reduce_kernelILb1ELb1ELj2ENS0_21wrapped_reduce_configINS_14default_configEdEEdN6thrust11hip_rocprim26transform_input_iterator_tIdNS5_6detail15normal_iteratorINS5_10device_ptrIdEEEEZ4mainEUldE_EEPddNS5_4plusIdEEEEvT4_mT5_T6_T7_ ; -- Begin function _ZN7rocprim6detail19block_reduce_kernelILb1ELb1ELj2ENS0_21wrapped_reduce_configINS_14default_configEdEEdN6thrust11hip_rocprim26transform_input_iterator_tIdNS5_6detail15normal_iteratorINS5_10device_ptrIdEEEEZ4mainEUldE_EEPddNS5_4plusIdEEEEvT4_mT5_T6_T7_
	.p2align	8
	.type	_ZN7rocprim6detail19block_reduce_kernelILb1ELb1ELj2ENS0_21wrapped_reduce_configINS_14default_configEdEEdN6thrust11hip_rocprim26transform_input_iterator_tIdNS5_6detail15normal_iteratorINS5_10device_ptrIdEEEEZ4mainEUldE_EEPddNS5_4plusIdEEEEvT4_mT5_T6_T7_,@function
_ZN7rocprim6detail19block_reduce_kernelILb1ELb1ELj2ENS0_21wrapped_reduce_configINS_14default_configEdEEdN6thrust11hip_rocprim26transform_input_iterator_tIdNS5_6detail15normal_iteratorINS5_10device_ptrIdEEEEZ4mainEUldE_EEPddNS5_4plusIdEEEEvT4_mT5_T6_T7_: ; @_ZN7rocprim6detail19block_reduce_kernelILb1ELb1ELj2ENS0_21wrapped_reduce_configINS_14default_configEdEEdN6thrust11hip_rocprim26transform_input_iterator_tIdNS5_6detail15normal_iteratorINS5_10device_ptrIdEEEEZ4mainEUldE_EEPddNS5_4plusIdEEEEvT4_mT5_T6_T7_
; %bb.0:
	s_clause 0x2
	s_load_b128 s[8:11], s[0:1], 0x10
	s_load_b64 s[2:3], s[0:1], 0x0
	s_load_b64 s[12:13], s[0:1], 0x20
	s_mov_b32 s1, 0
	s_lshl_b32 s0, s15, 11
	v_lshlrev_b32_e32 v1, 3, v0
	s_lshl_b64 s[4:5], s[0:1], 3
	s_mov_b32 s14, s15
	s_mov_b32 s15, s1
	v_mbcnt_lo_u32_b32 v19, -1, 0
	s_waitcnt lgkmcnt(0)
	s_lshr_b64 s[6:7], s[8:9], 11
	s_add_u32 s1, s2, s4
	s_addc_u32 s2, s3, s5
	v_add_co_u32 v17, s1, s1, v1
	s_delay_alu instid0(VALU_DEP_1)
	v_add_co_ci_u32_e64 v18, null, s2, 0, s1
	s_cmp_lg_u64 s[6:7], s[14:15]
	s_cbranch_scc0 .LBB14_6
; %bb.1:
	s_clause 0x1
	global_load_b64 v[1:2], v[17:18], off
	global_load_b64 v[3:4], v[17:18], off offset:2048
	v_add_co_u32 v5, vcc_lo, v17, 0x2000
	v_add_co_ci_u32_e32 v6, vcc_lo, 0, v18, vcc_lo
	v_add_co_u32 v9, vcc_lo, 0x1000, v17
	v_add_co_ci_u32_e32 v10, vcc_lo, 0, v18, vcc_lo
	s_clause 0x2
	global_load_b64 v[7:8], v[5:6], off offset:-4096
	global_load_b64 v[9:10], v[9:10], off offset:2048
	global_load_b64 v[5:6], v[5:6], off
	v_add_co_u32 v11, vcc_lo, 0x2000, v17
	v_add_co_ci_u32_e32 v12, vcc_lo, 0, v18, vcc_lo
	v_add_co_u32 v13, vcc_lo, 0x3000, v17
	v_add_co_ci_u32_e32 v14, vcc_lo, 0, v18, vcc_lo
	s_clause 0x2
	global_load_b64 v[11:12], v[11:12], off offset:2048
	global_load_b64 v[15:16], v[13:14], off
	global_load_b64 v[13:14], v[13:14], off offset:2048
	s_mov_b32 s1, exec_lo
	s_waitcnt vmcnt(6)
	v_add_f64 v[1:2], |v[1:2]|, |v[3:4]|
	s_waitcnt vmcnt(5)
	s_delay_alu instid0(VALU_DEP_1) | instskip(SKIP_1) | instid1(VALU_DEP_1)
	v_add_f64 v[1:2], v[1:2], |v[7:8]|
	s_waitcnt vmcnt(4)
	v_add_f64 v[1:2], v[1:2], |v[9:10]|
	s_waitcnt vmcnt(3)
	s_delay_alu instid0(VALU_DEP_1) | instskip(SKIP_1) | instid1(VALU_DEP_1)
	v_add_f64 v[1:2], v[1:2], |v[5:6]|
	s_waitcnt vmcnt(2)
	v_add_f64 v[1:2], v[1:2], |v[11:12]|
	;; [unrolled: 5-line block ×3, first 2 shown]
	s_delay_alu instid0(VALU_DEP_1) | instskip(NEXT) | instid1(VALU_DEP_2)
	v_mov_b32_dpp v3, v1 quad_perm:[1,0,3,2] row_mask:0xf bank_mask:0xf
	v_mov_b32_dpp v4, v2 quad_perm:[1,0,3,2] row_mask:0xf bank_mask:0xf
	s_delay_alu instid0(VALU_DEP_1) | instskip(NEXT) | instid1(VALU_DEP_1)
	v_add_f64 v[1:2], v[1:2], v[3:4]
	v_mov_b32_dpp v3, v1 quad_perm:[2,3,0,1] row_mask:0xf bank_mask:0xf
	s_delay_alu instid0(VALU_DEP_2) | instskip(NEXT) | instid1(VALU_DEP_1)
	v_mov_b32_dpp v4, v2 quad_perm:[2,3,0,1] row_mask:0xf bank_mask:0xf
	v_add_f64 v[1:2], v[1:2], v[3:4]
	s_delay_alu instid0(VALU_DEP_1) | instskip(NEXT) | instid1(VALU_DEP_2)
	v_mov_b32_dpp v3, v1 row_ror:4 row_mask:0xf bank_mask:0xf
	v_mov_b32_dpp v4, v2 row_ror:4 row_mask:0xf bank_mask:0xf
	s_delay_alu instid0(VALU_DEP_1) | instskip(NEXT) | instid1(VALU_DEP_1)
	v_add_f64 v[1:2], v[1:2], v[3:4]
	v_mov_b32_dpp v3, v1 row_ror:8 row_mask:0xf bank_mask:0xf
	s_delay_alu instid0(VALU_DEP_2) | instskip(NEXT) | instid1(VALU_DEP_1)
	v_mov_b32_dpp v4, v2 row_ror:8 row_mask:0xf bank_mask:0xf
	v_add_f64 v[1:2], v[1:2], v[3:4]
	ds_swizzle_b32 v3, v1 offset:swizzle(BROADCAST,32,15)
	ds_swizzle_b32 v4, v2 offset:swizzle(BROADCAST,32,15)
	s_waitcnt lgkmcnt(0)
	v_add_f64 v[1:2], v[1:2], v[3:4]
	v_mov_b32_e32 v3, 0
	ds_bpermute_b32 v1, v3, v1 offset:124
	ds_bpermute_b32 v2, v3, v2 offset:124
	v_cmpx_eq_u32_e32 0, v19
	s_cbranch_execz .LBB14_3
; %bb.2:
	v_lshrrev_b32_e32 v3, 2, v0
	s_delay_alu instid0(VALU_DEP_1)
	v_and_b32_e32 v3, 56, v3
	s_waitcnt lgkmcnt(0)
	ds_store_b64 v3, v[1:2]
.LBB14_3:
	s_or_b32 exec_lo, exec_lo, s1
	s_delay_alu instid0(SALU_CYCLE_1)
	s_mov_b32 s1, exec_lo
	s_waitcnt lgkmcnt(0)
	s_barrier
	buffer_gl0_inv
	v_cmpx_gt_u32_e32 32, v0
	s_cbranch_execz .LBB14_5
; %bb.4:
	v_and_b32_e32 v5, 7, v19
	s_delay_alu instid0(VALU_DEP_1) | instskip(SKIP_4) | instid1(VALU_DEP_2)
	v_lshlrev_b32_e32 v1, 3, v5
	v_cmp_ne_u32_e32 vcc_lo, 7, v5
	ds_load_b64 v[1:2], v1
	v_add_co_ci_u32_e32 v3, vcc_lo, 0, v19, vcc_lo
	v_cmp_gt_u32_e32 vcc_lo, 6, v5
	v_lshlrev_b32_e32 v4, 2, v3
	s_waitcnt lgkmcnt(0)
	ds_bpermute_b32 v3, v4, v1
	ds_bpermute_b32 v4, v4, v2
	s_waitcnt lgkmcnt(0)
	v_add_f64 v[1:2], v[1:2], v[3:4]
	v_cndmask_b32_e64 v3, 0, 1, vcc_lo
	v_cmp_gt_u32_e32 vcc_lo, 4, v5
	s_delay_alu instid0(VALU_DEP_2) | instskip(NEXT) | instid1(VALU_DEP_1)
	v_lshlrev_b32_e32 v3, 1, v3
	v_add_lshl_u32 v4, v3, v19, 2
	ds_bpermute_b32 v3, v4, v1
	ds_bpermute_b32 v4, v4, v2
	s_waitcnt lgkmcnt(0)
	v_add_f64 v[1:2], v[1:2], v[3:4]
	v_cndmask_b32_e64 v3, 0, 1, vcc_lo
	s_delay_alu instid0(VALU_DEP_1) | instskip(NEXT) | instid1(VALU_DEP_1)
	v_lshlrev_b32_e32 v3, 2, v3
	v_add_lshl_u32 v4, v3, v19, 2
	ds_bpermute_b32 v3, v4, v1
	ds_bpermute_b32 v4, v4, v2
	s_waitcnt lgkmcnt(0)
	v_add_f64 v[1:2], v[1:2], v[3:4]
.LBB14_5:
	s_or_b32 exec_lo, exec_lo, s1
	s_branch .LBB14_44
.LBB14_6:
                                        ; implicit-def: $vgpr1_vgpr2
	s_cbranch_execz .LBB14_44
; %bb.7:
	s_sub_i32 s7, s8, s0
	s_mov_b32 s0, exec_lo
                                        ; implicit-def: $vgpr1_vgpr2_vgpr3_vgpr4_vgpr5_vgpr6_vgpr7_vgpr8_vgpr9_vgpr10_vgpr11_vgpr12_vgpr13_vgpr14_vgpr15_vgpr16
	v_cmpx_gt_u32_e64 s7, v0
	s_cbranch_execz .LBB14_9
; %bb.8:
	global_load_b64 v[1:2], v[17:18], off
	s_waitcnt vmcnt(0)
	v_and_b32_e32 v2, 0x7fffffff, v2
.LBB14_9:
	s_or_b32 exec_lo, exec_lo, s0
	v_or_b32_e32 v20, 0x100, v0
	s_delay_alu instid0(VALU_DEP_1)
	v_cmp_gt_u32_e32 vcc_lo, s7, v20
	s_and_saveexec_b32 s0, vcc_lo
	s_cbranch_execz .LBB14_11
; %bb.10:
	global_load_b64 v[3:4], v[17:18], off offset:2048
	s_waitcnt vmcnt(0)
	v_and_b32_e32 v4, 0x7fffffff, v4
.LBB14_11:
	s_or_b32 exec_lo, exec_lo, s0
	v_or_b32_e32 v20, 0x200, v0
	s_delay_alu instid0(VALU_DEP_1) | instskip(NEXT) | instid1(VALU_DEP_1)
	v_cmp_gt_u32_e64 s0, s7, v20
	s_and_saveexec_b32 s2, s0
	s_cbranch_execz .LBB14_13
; %bb.12:
	v_add_co_u32 v5, s1, 0x1000, v17
	s_delay_alu instid0(VALU_DEP_1)
	v_add_co_ci_u32_e64 v6, s1, 0, v18, s1
	global_load_b64 v[5:6], v[5:6], off
	s_waitcnt vmcnt(0)
	v_and_b32_e32 v6, 0x7fffffff, v6
.LBB14_13:
	s_or_b32 exec_lo, exec_lo, s2
	v_or_b32_e32 v20, 0x300, v0
	s_delay_alu instid0(VALU_DEP_1) | instskip(NEXT) | instid1(VALU_DEP_1)
	v_cmp_gt_u32_e64 s1, s7, v20
	s_and_saveexec_b32 s3, s1
	s_cbranch_execz .LBB14_15
; %bb.14:
	v_add_co_u32 v7, s2, 0x1000, v17
	s_delay_alu instid0(VALU_DEP_1)
	v_add_co_ci_u32_e64 v8, s2, 0, v18, s2
	global_load_b64 v[7:8], v[7:8], off offset:2048
	s_waitcnt vmcnt(0)
	v_and_b32_e32 v8, 0x7fffffff, v8
.LBB14_15:
	s_or_b32 exec_lo, exec_lo, s3
	v_or_b32_e32 v20, 0x400, v0
	s_delay_alu instid0(VALU_DEP_1) | instskip(NEXT) | instid1(VALU_DEP_1)
	v_cmp_gt_u32_e64 s2, s7, v20
	s_and_saveexec_b32 s4, s2
	s_cbranch_execz .LBB14_17
; %bb.16:
	v_add_co_u32 v9, s3, 0x2000, v17
	s_delay_alu instid0(VALU_DEP_1)
	v_add_co_ci_u32_e64 v10, s3, 0, v18, s3
	global_load_b64 v[9:10], v[9:10], off
	s_waitcnt vmcnt(0)
	v_and_b32_e32 v10, 0x7fffffff, v10
.LBB14_17:
	s_or_b32 exec_lo, exec_lo, s4
	v_or_b32_e32 v20, 0x500, v0
	s_delay_alu instid0(VALU_DEP_1) | instskip(NEXT) | instid1(VALU_DEP_1)
	v_cmp_gt_u32_e64 s3, s7, v20
	s_and_saveexec_b32 s5, s3
	s_cbranch_execz .LBB14_19
; %bb.18:
	v_add_co_u32 v11, s4, 0x2000, v17
	s_delay_alu instid0(VALU_DEP_1)
	v_add_co_ci_u32_e64 v12, s4, 0, v18, s4
	global_load_b64 v[11:12], v[11:12], off offset:2048
	s_waitcnt vmcnt(0)
	v_and_b32_e32 v12, 0x7fffffff, v12
.LBB14_19:
	;; [unrolled: 28-line block ×3, first 2 shown]
	s_or_b32 exec_lo, exec_lo, s16
	v_add_f64 v[3:4], v[1:2], v[3:4]
	s_delay_alu instid0(VALU_DEP_1) | instskip(SKIP_1) | instid1(VALU_DEP_2)
	v_dual_cndmask_b32 v2, v2, v4 :: v_dual_cndmask_b32 v1, v1, v3
	v_cmp_ne_u32_e32 vcc_lo, 31, v19
	v_add_f64 v[3:4], v[5:6], v[1:2]
	v_add_co_ci_u32_e32 v5, vcc_lo, 0, v19, vcc_lo
	v_add_nc_u32_e32 v6, 1, v19
	s_delay_alu instid0(VALU_DEP_2) | instskip(NEXT) | instid1(VALU_DEP_4)
	v_lshlrev_b32_e32 v5, 2, v5
	v_cndmask_b32_e64 v2, v2, v4, s0
	v_cndmask_b32_e64 v1, v1, v3, s0
	s_min_u32 s0, s7, 0x100
	s_delay_alu instid0(VALU_DEP_1) | instskip(NEXT) | instid1(VALU_DEP_1)
	v_add_f64 v[3:4], v[7:8], v[1:2]
	v_cndmask_b32_e64 v2, v2, v4, s1
	s_delay_alu instid0(VALU_DEP_2) | instskip(SKIP_1) | instid1(VALU_DEP_1)
	v_cndmask_b32_e64 v1, v1, v3, s1
	s_mov_b32 s1, exec_lo
	v_add_f64 v[3:4], v[9:10], v[1:2]
	s_delay_alu instid0(VALU_DEP_1) | instskip(NEXT) | instid1(VALU_DEP_2)
	v_cndmask_b32_e64 v2, v2, v4, s2
	v_cndmask_b32_e64 v1, v1, v3, s2
	s_delay_alu instid0(VALU_DEP_1) | instskip(NEXT) | instid1(VALU_DEP_1)
	v_add_f64 v[3:4], v[11:12], v[1:2]
	v_cndmask_b32_e64 v2, v2, v4, s3
	s_delay_alu instid0(VALU_DEP_2) | instskip(NEXT) | instid1(VALU_DEP_1)
	v_cndmask_b32_e64 v1, v1, v3, s3
	v_add_f64 v[3:4], v[13:14], v[1:2]
	s_delay_alu instid0(VALU_DEP_1) | instskip(NEXT) | instid1(VALU_DEP_2)
	v_cndmask_b32_e64 v2, v2, v4, s4
	v_cndmask_b32_e64 v1, v1, v3, s4
	s_delay_alu instid0(VALU_DEP_1) | instskip(NEXT) | instid1(VALU_DEP_1)
	v_add_f64 v[3:4], v[15:16], v[1:2]
	v_cndmask_b32_e64 v1, v1, v3, s5
	s_delay_alu instid0(VALU_DEP_2) | instskip(SKIP_3) | instid1(VALU_DEP_1)
	v_cndmask_b32_e64 v2, v2, v4, s5
	ds_bpermute_b32 v3, v5, v1
	ds_bpermute_b32 v4, v5, v2
	v_and_b32_e32 v5, 0xe0, v0
	v_sub_nc_u32_e64 v5, s0, v5 clamp
	s_delay_alu instid0(VALU_DEP_1)
	v_cmpx_lt_u32_e64 v6, v5
	s_cbranch_execz .LBB14_25
; %bb.24:
	s_waitcnt lgkmcnt(0)
	v_add_f64 v[1:2], v[1:2], v[3:4]
.LBB14_25:
	s_or_b32 exec_lo, exec_lo, s1
	v_cmp_gt_u32_e32 vcc_lo, 30, v19
	v_add_nc_u32_e32 v6, 2, v19
	s_mov_b32 s1, exec_lo
	s_waitcnt lgkmcnt(1)
	v_cndmask_b32_e64 v3, 0, 1, vcc_lo
	s_delay_alu instid0(VALU_DEP_1) | instskip(SKIP_1) | instid1(VALU_DEP_1)
	v_lshlrev_b32_e32 v3, 1, v3
	s_waitcnt lgkmcnt(0)
	v_add_lshl_u32 v4, v3, v19, 2
	ds_bpermute_b32 v3, v4, v1
	ds_bpermute_b32 v4, v4, v2
	v_cmpx_lt_u32_e64 v6, v5
	s_cbranch_execz .LBB14_27
; %bb.26:
	s_waitcnt lgkmcnt(0)
	v_add_f64 v[1:2], v[1:2], v[3:4]
.LBB14_27:
	s_or_b32 exec_lo, exec_lo, s1
	v_cmp_gt_u32_e32 vcc_lo, 28, v19
	v_add_nc_u32_e32 v6, 4, v19
	s_mov_b32 s1, exec_lo
	s_waitcnt lgkmcnt(1)
	v_cndmask_b32_e64 v3, 0, 1, vcc_lo
	s_delay_alu instid0(VALU_DEP_1) | instskip(SKIP_1) | instid1(VALU_DEP_1)
	v_lshlrev_b32_e32 v3, 2, v3
	s_waitcnt lgkmcnt(0)
	v_add_lshl_u32 v4, v3, v19, 2
	ds_bpermute_b32 v3, v4, v1
	ds_bpermute_b32 v4, v4, v2
	;; [unrolled: 18-line block ×4, first 2 shown]
	v_cmpx_lt_u32_e64 v6, v5
	s_cbranch_execz .LBB14_33
; %bb.32:
	s_waitcnt lgkmcnt(0)
	v_add_f64 v[1:2], v[1:2], v[3:4]
.LBB14_33:
	s_or_b32 exec_lo, exec_lo, s1
	s_delay_alu instid0(SALU_CYCLE_1)
	s_mov_b32 s1, exec_lo
	v_cmpx_eq_u32_e32 0, v19
	s_cbranch_execz .LBB14_35
; %bb.34:
	s_waitcnt lgkmcnt(1)
	v_lshrrev_b32_e32 v3, 2, v0
	s_delay_alu instid0(VALU_DEP_1)
	v_and_b32_e32 v3, 56, v3
	ds_store_b64 v3, v[1:2] offset:64
.LBB14_35:
	s_or_b32 exec_lo, exec_lo, s1
	s_delay_alu instid0(SALU_CYCLE_1)
	s_mov_b32 s1, exec_lo
	s_waitcnt lgkmcnt(0)
	s_barrier
	buffer_gl0_inv
	v_cmpx_gt_u32_e32 8, v0
	s_cbranch_execz .LBB14_43
; %bb.36:
	v_lshlrev_b32_e32 v1, 3, v19
	v_and_b32_e32 v5, 7, v19
	s_add_i32 s0, s0, 31
	s_mov_b32 s2, exec_lo
	s_lshr_b32 s0, s0, 5
	ds_load_b64 v[1:2], v1 offset:64
	v_cmp_ne_u32_e32 vcc_lo, 7, v5
	v_add_nc_u32_e32 v6, 1, v5
	v_add_co_ci_u32_e32 v3, vcc_lo, 0, v19, vcc_lo
	s_delay_alu instid0(VALU_DEP_1)
	v_lshlrev_b32_e32 v4, 2, v3
	s_waitcnt lgkmcnt(0)
	ds_bpermute_b32 v3, v4, v1
	ds_bpermute_b32 v4, v4, v2
	v_cmpx_gt_u32_e64 s0, v6
	s_cbranch_execz .LBB14_38
; %bb.37:
	s_waitcnt lgkmcnt(0)
	v_add_f64 v[1:2], v[1:2], v[3:4]
.LBB14_38:
	s_or_b32 exec_lo, exec_lo, s2
	v_cmp_gt_u32_e32 vcc_lo, 6, v5
	v_add_nc_u32_e32 v6, 2, v5
	s_mov_b32 s2, exec_lo
	s_waitcnt lgkmcnt(1)
	v_cndmask_b32_e64 v3, 0, 1, vcc_lo
	s_delay_alu instid0(VALU_DEP_1) | instskip(SKIP_1) | instid1(VALU_DEP_1)
	v_lshlrev_b32_e32 v3, 1, v3
	s_waitcnt lgkmcnt(0)
	v_add_lshl_u32 v4, v3, v19, 2
	ds_bpermute_b32 v3, v4, v1
	ds_bpermute_b32 v4, v4, v2
	v_cmpx_gt_u32_e64 s0, v6
	s_cbranch_execz .LBB14_40
; %bb.39:
	s_waitcnt lgkmcnt(0)
	v_add_f64 v[1:2], v[1:2], v[3:4]
.LBB14_40:
	s_or_b32 exec_lo, exec_lo, s2
	v_cmp_gt_u32_e32 vcc_lo, 4, v5
	v_add_nc_u32_e32 v5, 4, v5
	s_waitcnt lgkmcnt(1)
	v_cndmask_b32_e64 v3, 0, 1, vcc_lo
	s_delay_alu instid0(VALU_DEP_2) | instskip(NEXT) | instid1(VALU_DEP_2)
	v_cmp_gt_u32_e32 vcc_lo, s0, v5
	v_lshlrev_b32_e32 v3, 2, v3
	s_waitcnt lgkmcnt(0)
	s_delay_alu instid0(VALU_DEP_1)
	v_add_lshl_u32 v4, v3, v19, 2
	ds_bpermute_b32 v3, v4, v1
	ds_bpermute_b32 v4, v4, v2
	s_and_saveexec_b32 s0, vcc_lo
	s_cbranch_execz .LBB14_42
; %bb.41:
	s_waitcnt lgkmcnt(0)
	v_add_f64 v[1:2], v[1:2], v[3:4]
.LBB14_42:
	s_or_b32 exec_lo, exec_lo, s0
.LBB14_43:
	s_delay_alu instid0(SALU_CYCLE_1)
	s_or_b32 exec_lo, exec_lo, s1
.LBB14_44:
	s_delay_alu instid0(SALU_CYCLE_1)
	s_mov_b32 s0, exec_lo
	v_cmpx_eq_u32_e32 0, v0
	s_cbranch_execz .LBB14_46
; %bb.45:
	s_delay_alu instid0(VALU_DEP_2)
	v_add_f64 v[0:1], v[1:2], s[12:13]
	s_lshl_b64 s[0:1], s[14:15], 3
	v_mov_b32_e32 v2, 0
	s_add_u32 s0, s10, s0
	s_addc_u32 s1, s11, s1
	s_cmp_eq_u64 s[8:9], 0
	s_cselect_b32 s2, -1, 0
	s_delay_alu instid0(VALU_DEP_2) | instid1(SALU_CYCLE_1)
	v_cndmask_b32_e64 v1, v1, s13, s2
	s_delay_alu instid0(VALU_DEP_3)
	v_cndmask_b32_e64 v0, v0, s12, s2
	global_store_b64 v2, v[0:1], s[0:1]
.LBB14_46:
	s_nop 0
	s_sendmsg sendmsg(MSG_DEALLOC_VGPRS)
	s_endpgm
	.section	.rodata,"a",@progbits
	.p2align	6, 0x0
	.amdhsa_kernel _ZN7rocprim6detail19block_reduce_kernelILb1ELb1ELj2ENS0_21wrapped_reduce_configINS_14default_configEdEEdN6thrust11hip_rocprim26transform_input_iterator_tIdNS5_6detail15normal_iteratorINS5_10device_ptrIdEEEEZ4mainEUldE_EEPddNS5_4plusIdEEEEvT4_mT5_T6_T7_
		.amdhsa_group_segment_fixed_size 128
		.amdhsa_private_segment_fixed_size 0
		.amdhsa_kernarg_size 44
		.amdhsa_user_sgpr_count 15
		.amdhsa_user_sgpr_dispatch_ptr 0
		.amdhsa_user_sgpr_queue_ptr 0
		.amdhsa_user_sgpr_kernarg_segment_ptr 1
		.amdhsa_user_sgpr_dispatch_id 0
		.amdhsa_user_sgpr_private_segment_size 0
		.amdhsa_wavefront_size32 1
		.amdhsa_uses_dynamic_stack 0
		.amdhsa_enable_private_segment 0
		.amdhsa_system_sgpr_workgroup_id_x 1
		.amdhsa_system_sgpr_workgroup_id_y 0
		.amdhsa_system_sgpr_workgroup_id_z 0
		.amdhsa_system_sgpr_workgroup_info 0
		.amdhsa_system_vgpr_workitem_id 0
		.amdhsa_next_free_vgpr 21
		.amdhsa_next_free_sgpr 17
		.amdhsa_reserve_vcc 1
		.amdhsa_float_round_mode_32 0
		.amdhsa_float_round_mode_16_64 0
		.amdhsa_float_denorm_mode_32 3
		.amdhsa_float_denorm_mode_16_64 3
		.amdhsa_dx10_clamp 1
		.amdhsa_ieee_mode 1
		.amdhsa_fp16_overflow 0
		.amdhsa_workgroup_processor_mode 1
		.amdhsa_memory_ordered 1
		.amdhsa_forward_progress 0
		.amdhsa_shared_vgpr_count 0
		.amdhsa_exception_fp_ieee_invalid_op 0
		.amdhsa_exception_fp_denorm_src 0
		.amdhsa_exception_fp_ieee_div_zero 0
		.amdhsa_exception_fp_ieee_overflow 0
		.amdhsa_exception_fp_ieee_underflow 0
		.amdhsa_exception_fp_ieee_inexact 0
		.amdhsa_exception_int_div_zero 0
	.end_amdhsa_kernel
	.section	.text._ZN7rocprim6detail19block_reduce_kernelILb1ELb1ELj2ENS0_21wrapped_reduce_configINS_14default_configEdEEdN6thrust11hip_rocprim26transform_input_iterator_tIdNS5_6detail15normal_iteratorINS5_10device_ptrIdEEEEZ4mainEUldE_EEPddNS5_4plusIdEEEEvT4_mT5_T6_T7_,"axG",@progbits,_ZN7rocprim6detail19block_reduce_kernelILb1ELb1ELj2ENS0_21wrapped_reduce_configINS_14default_configEdEEdN6thrust11hip_rocprim26transform_input_iterator_tIdNS5_6detail15normal_iteratorINS5_10device_ptrIdEEEEZ4mainEUldE_EEPddNS5_4plusIdEEEEvT4_mT5_T6_T7_,comdat
.Lfunc_end14:
	.size	_ZN7rocprim6detail19block_reduce_kernelILb1ELb1ELj2ENS0_21wrapped_reduce_configINS_14default_configEdEEdN6thrust11hip_rocprim26transform_input_iterator_tIdNS5_6detail15normal_iteratorINS5_10device_ptrIdEEEEZ4mainEUldE_EEPddNS5_4plusIdEEEEvT4_mT5_T6_T7_, .Lfunc_end14-_ZN7rocprim6detail19block_reduce_kernelILb1ELb1ELj2ENS0_21wrapped_reduce_configINS_14default_configEdEEdN6thrust11hip_rocprim26transform_input_iterator_tIdNS5_6detail15normal_iteratorINS5_10device_ptrIdEEEEZ4mainEUldE_EEPddNS5_4plusIdEEEEvT4_mT5_T6_T7_
                                        ; -- End function
	.section	.AMDGPU.csdata,"",@progbits
; Kernel info:
; codeLenInByte = 2412
; NumSgprs: 19
; NumVgprs: 21
; ScratchSize: 0
; MemoryBound: 0
; FloatMode: 240
; IeeeMode: 1
; LDSByteSize: 128 bytes/workgroup (compile time only)
; SGPRBlocks: 2
; VGPRBlocks: 2
; NumSGPRsForWavesPerEU: 19
; NumVGPRsForWavesPerEU: 21
; Occupancy: 16
; WaveLimiterHint : 1
; COMPUTE_PGM_RSRC2:SCRATCH_EN: 0
; COMPUTE_PGM_RSRC2:USER_SGPR: 15
; COMPUTE_PGM_RSRC2:TRAP_HANDLER: 0
; COMPUTE_PGM_RSRC2:TGID_X_EN: 1
; COMPUTE_PGM_RSRC2:TGID_Y_EN: 0
; COMPUTE_PGM_RSRC2:TGID_Z_EN: 0
; COMPUTE_PGM_RSRC2:TIDIG_COMP_CNT: 0
	.section	.text._ZN7rocprim6detail19block_reduce_kernelILb1ELb1ELj4ENS0_21wrapped_reduce_configINS_14default_configEdEEdN6thrust11hip_rocprim26transform_input_iterator_tIdNS5_6detail15normal_iteratorINS5_10device_ptrIdEEEEZ4mainEUldE_EEPddNS5_4plusIdEEEEvT4_mT5_T6_T7_,"axG",@progbits,_ZN7rocprim6detail19block_reduce_kernelILb1ELb1ELj4ENS0_21wrapped_reduce_configINS_14default_configEdEEdN6thrust11hip_rocprim26transform_input_iterator_tIdNS5_6detail15normal_iteratorINS5_10device_ptrIdEEEEZ4mainEUldE_EEPddNS5_4plusIdEEEEvT4_mT5_T6_T7_,comdat
	.globl	_ZN7rocprim6detail19block_reduce_kernelILb1ELb1ELj4ENS0_21wrapped_reduce_configINS_14default_configEdEEdN6thrust11hip_rocprim26transform_input_iterator_tIdNS5_6detail15normal_iteratorINS5_10device_ptrIdEEEEZ4mainEUldE_EEPddNS5_4plusIdEEEEvT4_mT5_T6_T7_ ; -- Begin function _ZN7rocprim6detail19block_reduce_kernelILb1ELb1ELj4ENS0_21wrapped_reduce_configINS_14default_configEdEEdN6thrust11hip_rocprim26transform_input_iterator_tIdNS5_6detail15normal_iteratorINS5_10device_ptrIdEEEEZ4mainEUldE_EEPddNS5_4plusIdEEEEvT4_mT5_T6_T7_
	.p2align	8
	.type	_ZN7rocprim6detail19block_reduce_kernelILb1ELb1ELj4ENS0_21wrapped_reduce_configINS_14default_configEdEEdN6thrust11hip_rocprim26transform_input_iterator_tIdNS5_6detail15normal_iteratorINS5_10device_ptrIdEEEEZ4mainEUldE_EEPddNS5_4plusIdEEEEvT4_mT5_T6_T7_,@function
_ZN7rocprim6detail19block_reduce_kernelILb1ELb1ELj4ENS0_21wrapped_reduce_configINS_14default_configEdEEdN6thrust11hip_rocprim26transform_input_iterator_tIdNS5_6detail15normal_iteratorINS5_10device_ptrIdEEEEZ4mainEUldE_EEPddNS5_4plusIdEEEEvT4_mT5_T6_T7_: ; @_ZN7rocprim6detail19block_reduce_kernelILb1ELb1ELj4ENS0_21wrapped_reduce_configINS_14default_configEdEEdN6thrust11hip_rocprim26transform_input_iterator_tIdNS5_6detail15normal_iteratorINS5_10device_ptrIdEEEEZ4mainEUldE_EEPddNS5_4plusIdEEEEvT4_mT5_T6_T7_
; %bb.0:
	s_clause 0x2
	s_load_b128 s[16:19], s[0:1], 0x10
	s_load_b64 s[2:3], s[0:1], 0x0
	s_load_b64 s[20:21], s[0:1], 0x20
	s_mov_b32 s1, 0
	s_lshl_b32 s0, s15, 12
	v_lshlrev_b32_e32 v1, 3, v0
	s_lshl_b64 s[4:5], s[0:1], 3
	s_mov_b32 s23, s1
	v_mbcnt_lo_u32_b32 v35, -1, 0
	s_mov_b32 s22, s15
	s_waitcnt lgkmcnt(0)
	s_lshr_b64 s[6:7], s[16:17], 12
	s_add_u32 s1, s2, s4
	s_addc_u32 s2, s3, s5
	v_add_co_u32 v33, s1, s1, v1
	s_delay_alu instid0(VALU_DEP_1)
	v_add_co_ci_u32_e64 v34, null, s2, 0, s1
	s_cmp_lg_u64 s[6:7], s[22:23]
	s_cbranch_scc0 .LBB15_6
; %bb.1:
	s_clause 0x1
	global_load_b64 v[1:2], v[33:34], off
	global_load_b64 v[3:4], v[33:34], off offset:2048
	v_add_co_u32 v5, vcc_lo, v33, 0x2000
	v_add_co_ci_u32_e32 v6, vcc_lo, 0, v34, vcc_lo
	v_add_co_u32 v9, vcc_lo, 0x1000, v33
	v_add_co_ci_u32_e32 v10, vcc_lo, 0, v34, vcc_lo
	s_clause 0x2
	global_load_b64 v[7:8], v[5:6], off offset:-4096
	global_load_b64 v[9:10], v[9:10], off offset:2048
	global_load_b64 v[5:6], v[5:6], off
	v_add_co_u32 v11, vcc_lo, 0x2000, v33
	v_add_co_ci_u32_e32 v12, vcc_lo, 0, v34, vcc_lo
	v_add_co_u32 v13, vcc_lo, v33, 0x4000
	v_add_co_ci_u32_e32 v14, vcc_lo, 0, v34, vcc_lo
	global_load_b64 v[11:12], v[11:12], off offset:2048
	v_add_co_u32 v17, vcc_lo, 0x3000, v33
	global_load_b64 v[15:16], v[13:14], off offset:-4096
	v_add_co_ci_u32_e32 v18, vcc_lo, 0, v34, vcc_lo
	s_clause 0x1
	global_load_b64 v[17:18], v[17:18], off offset:2048
	global_load_b64 v[13:14], v[13:14], off
	v_add_co_u32 v19, vcc_lo, 0x4000, v33
	v_add_co_ci_u32_e32 v20, vcc_lo, 0, v34, vcc_lo
	s_mov_b32 s1, exec_lo
	global_load_b64 v[19:20], v[19:20], off offset:2048
	s_waitcnt vmcnt(8)
	v_add_f64 v[1:2], |v[1:2]|, |v[3:4]|
	v_add_co_u32 v3, vcc_lo, v33, 0x6000
	v_add_co_ci_u32_e32 v4, vcc_lo, 0, v34, vcc_lo
	v_add_co_u32 v23, vcc_lo, 0x7000, v33
	v_add_co_ci_u32_e32 v24, vcc_lo, 0, v34, vcc_lo
	s_clause 0x1
	global_load_b64 v[21:22], v[3:4], off offset:-4096
	global_load_b64 v[25:26], v[23:24], off offset:2048
	s_waitcnt vmcnt(9)
	v_add_f64 v[1:2], v[1:2], |v[7:8]|
	v_add_co_u32 v7, vcc_lo, 0x5000, v33
	v_add_co_ci_u32_e32 v8, vcc_lo, 0, v34, vcc_lo
	global_load_b64 v[7:8], v[7:8], off offset:2048
	s_waitcnt vmcnt(9)
	v_add_f64 v[1:2], v[1:2], |v[9:10]|
	global_load_b64 v[9:10], v[23:24], off
	s_waitcnt vmcnt(9)
	v_add_f64 v[1:2], v[1:2], |v[5:6]|
	v_add_co_u32 v5, vcc_lo, 0x6000, v33
	v_add_co_ci_u32_e32 v6, vcc_lo, 0, v34, vcc_lo
	s_clause 0x1
	global_load_b64 v[5:6], v[5:6], off offset:2048
	global_load_b64 v[3:4], v[3:4], off
	s_waitcnt vmcnt(10)
	v_add_f64 v[1:2], v[1:2], |v[11:12]|
	s_waitcnt vmcnt(9)
	s_delay_alu instid0(VALU_DEP_1) | instskip(SKIP_1) | instid1(VALU_DEP_1)
	v_add_f64 v[1:2], v[1:2], |v[15:16]|
	s_waitcnt vmcnt(8)
	v_add_f64 v[1:2], v[1:2], |v[17:18]|
	s_waitcnt vmcnt(7)
	s_delay_alu instid0(VALU_DEP_1) | instskip(SKIP_1) | instid1(VALU_DEP_1)
	v_add_f64 v[1:2], v[1:2], |v[13:14]|
	;; [unrolled: 5-line block ×3, first 2 shown]
	s_waitcnt vmcnt(3)
	v_add_f64 v[1:2], v[1:2], |v[7:8]|
	s_waitcnt vmcnt(0)
	s_delay_alu instid0(VALU_DEP_1) | instskip(NEXT) | instid1(VALU_DEP_1)
	v_add_f64 v[1:2], v[1:2], |v[3:4]|
	v_add_f64 v[1:2], v[1:2], |v[5:6]|
	s_delay_alu instid0(VALU_DEP_1) | instskip(NEXT) | instid1(VALU_DEP_1)
	v_add_f64 v[1:2], v[1:2], |v[9:10]|
	v_add_f64 v[1:2], v[1:2], |v[25:26]|
	s_delay_alu instid0(VALU_DEP_1) | instskip(NEXT) | instid1(VALU_DEP_2)
	v_mov_b32_dpp v3, v1 quad_perm:[1,0,3,2] row_mask:0xf bank_mask:0xf
	v_mov_b32_dpp v4, v2 quad_perm:[1,0,3,2] row_mask:0xf bank_mask:0xf
	s_delay_alu instid0(VALU_DEP_1) | instskip(NEXT) | instid1(VALU_DEP_1)
	v_add_f64 v[1:2], v[1:2], v[3:4]
	v_mov_b32_dpp v3, v1 quad_perm:[2,3,0,1] row_mask:0xf bank_mask:0xf
	s_delay_alu instid0(VALU_DEP_2) | instskip(NEXT) | instid1(VALU_DEP_1)
	v_mov_b32_dpp v4, v2 quad_perm:[2,3,0,1] row_mask:0xf bank_mask:0xf
	v_add_f64 v[1:2], v[1:2], v[3:4]
	s_delay_alu instid0(VALU_DEP_1) | instskip(NEXT) | instid1(VALU_DEP_2)
	v_mov_b32_dpp v3, v1 row_ror:4 row_mask:0xf bank_mask:0xf
	v_mov_b32_dpp v4, v2 row_ror:4 row_mask:0xf bank_mask:0xf
	s_delay_alu instid0(VALU_DEP_1) | instskip(NEXT) | instid1(VALU_DEP_1)
	v_add_f64 v[1:2], v[1:2], v[3:4]
	v_mov_b32_dpp v3, v1 row_ror:8 row_mask:0xf bank_mask:0xf
	s_delay_alu instid0(VALU_DEP_2) | instskip(NEXT) | instid1(VALU_DEP_1)
	v_mov_b32_dpp v4, v2 row_ror:8 row_mask:0xf bank_mask:0xf
	v_add_f64 v[1:2], v[1:2], v[3:4]
	ds_swizzle_b32 v3, v1 offset:swizzle(BROADCAST,32,15)
	ds_swizzle_b32 v4, v2 offset:swizzle(BROADCAST,32,15)
	s_waitcnt lgkmcnt(0)
	v_add_f64 v[1:2], v[1:2], v[3:4]
	v_mov_b32_e32 v3, 0
	ds_bpermute_b32 v1, v3, v1 offset:124
	ds_bpermute_b32 v2, v3, v2 offset:124
	v_cmpx_eq_u32_e32 0, v35
	s_cbranch_execz .LBB15_3
; %bb.2:
	v_lshrrev_b32_e32 v3, 2, v0
	s_delay_alu instid0(VALU_DEP_1)
	v_and_b32_e32 v3, 56, v3
	s_waitcnt lgkmcnt(0)
	ds_store_b64 v3, v[1:2]
.LBB15_3:
	s_or_b32 exec_lo, exec_lo, s1
	s_delay_alu instid0(SALU_CYCLE_1)
	s_mov_b32 s1, exec_lo
	s_waitcnt lgkmcnt(0)
	s_barrier
	buffer_gl0_inv
	v_cmpx_gt_u32_e32 32, v0
	s_cbranch_execz .LBB15_5
; %bb.4:
	v_and_b32_e32 v5, 7, v35
	s_delay_alu instid0(VALU_DEP_1) | instskip(SKIP_4) | instid1(VALU_DEP_2)
	v_lshlrev_b32_e32 v1, 3, v5
	v_cmp_ne_u32_e32 vcc_lo, 7, v5
	ds_load_b64 v[1:2], v1
	v_add_co_ci_u32_e32 v3, vcc_lo, 0, v35, vcc_lo
	v_cmp_gt_u32_e32 vcc_lo, 6, v5
	v_lshlrev_b32_e32 v4, 2, v3
	s_waitcnt lgkmcnt(0)
	ds_bpermute_b32 v3, v4, v1
	ds_bpermute_b32 v4, v4, v2
	s_waitcnt lgkmcnt(0)
	v_add_f64 v[1:2], v[1:2], v[3:4]
	v_cndmask_b32_e64 v3, 0, 1, vcc_lo
	v_cmp_gt_u32_e32 vcc_lo, 4, v5
	s_delay_alu instid0(VALU_DEP_2) | instskip(NEXT) | instid1(VALU_DEP_1)
	v_lshlrev_b32_e32 v3, 1, v3
	v_add_lshl_u32 v4, v3, v35, 2
	ds_bpermute_b32 v3, v4, v1
	ds_bpermute_b32 v4, v4, v2
	s_waitcnt lgkmcnt(0)
	v_add_f64 v[1:2], v[1:2], v[3:4]
	v_cndmask_b32_e64 v3, 0, 1, vcc_lo
	s_delay_alu instid0(VALU_DEP_1) | instskip(NEXT) | instid1(VALU_DEP_1)
	v_lshlrev_b32_e32 v3, 2, v3
	v_add_lshl_u32 v4, v3, v35, 2
	ds_bpermute_b32 v3, v4, v1
	ds_bpermute_b32 v4, v4, v2
	s_waitcnt lgkmcnt(0)
	v_add_f64 v[1:2], v[1:2], v[3:4]
.LBB15_5:
	s_or_b32 exec_lo, exec_lo, s1
	s_branch .LBB15_60
.LBB15_6:
                                        ; implicit-def: $vgpr1_vgpr2
	s_cbranch_execz .LBB15_60
; %bb.7:
	s_sub_i32 s15, s16, s0
	s_mov_b32 s0, exec_lo
                                        ; implicit-def: $vgpr1_vgpr2_vgpr3_vgpr4_vgpr5_vgpr6_vgpr7_vgpr8_vgpr9_vgpr10_vgpr11_vgpr12_vgpr13_vgpr14_vgpr15_vgpr16_vgpr17_vgpr18_vgpr19_vgpr20_vgpr21_vgpr22_vgpr23_vgpr24_vgpr25_vgpr26_vgpr27_vgpr28_vgpr29_vgpr30_vgpr31_vgpr32
	v_cmpx_gt_u32_e64 s15, v0
	s_cbranch_execz .LBB15_9
; %bb.8:
	global_load_b64 v[1:2], v[33:34], off
	s_waitcnt vmcnt(0)
	v_and_b32_e32 v2, 0x7fffffff, v2
.LBB15_9:
	s_or_b32 exec_lo, exec_lo, s0
	v_or_b32_e32 v36, 0x100, v0
	s_delay_alu instid0(VALU_DEP_1)
	v_cmp_gt_u32_e32 vcc_lo, s15, v36
	s_and_saveexec_b32 s0, vcc_lo
	s_cbranch_execz .LBB15_11
; %bb.10:
	global_load_b64 v[3:4], v[33:34], off offset:2048
	s_waitcnt vmcnt(0)
	v_and_b32_e32 v4, 0x7fffffff, v4
.LBB15_11:
	s_or_b32 exec_lo, exec_lo, s0
	v_or_b32_e32 v36, 0x200, v0
	s_delay_alu instid0(VALU_DEP_1) | instskip(NEXT) | instid1(VALU_DEP_1)
	v_cmp_gt_u32_e64 s0, s15, v36
	s_and_saveexec_b32 s2, s0
	s_cbranch_execz .LBB15_13
; %bb.12:
	v_add_co_u32 v5, s1, 0x1000, v33
	s_delay_alu instid0(VALU_DEP_1)
	v_add_co_ci_u32_e64 v6, s1, 0, v34, s1
	global_load_b64 v[5:6], v[5:6], off
	s_waitcnt vmcnt(0)
	v_and_b32_e32 v6, 0x7fffffff, v6
.LBB15_13:
	s_or_b32 exec_lo, exec_lo, s2
	v_or_b32_e32 v36, 0x300, v0
	s_delay_alu instid0(VALU_DEP_1) | instskip(NEXT) | instid1(VALU_DEP_1)
	v_cmp_gt_u32_e64 s1, s15, v36
	s_and_saveexec_b32 s3, s1
	s_cbranch_execz .LBB15_15
; %bb.14:
	v_add_co_u32 v7, s2, 0x1000, v33
	s_delay_alu instid0(VALU_DEP_1)
	v_add_co_ci_u32_e64 v8, s2, 0, v34, s2
	global_load_b64 v[7:8], v[7:8], off offset:2048
	s_waitcnt vmcnt(0)
	v_and_b32_e32 v8, 0x7fffffff, v8
.LBB15_15:
	s_or_b32 exec_lo, exec_lo, s3
	v_or_b32_e32 v36, 0x400, v0
	s_delay_alu instid0(VALU_DEP_1) | instskip(NEXT) | instid1(VALU_DEP_1)
	v_cmp_gt_u32_e64 s2, s15, v36
	s_and_saveexec_b32 s4, s2
	s_cbranch_execz .LBB15_17
; %bb.16:
	v_add_co_u32 v9, s3, 0x2000, v33
	s_delay_alu instid0(VALU_DEP_1)
	v_add_co_ci_u32_e64 v10, s3, 0, v34, s3
	global_load_b64 v[9:10], v[9:10], off
	s_waitcnt vmcnt(0)
	v_and_b32_e32 v10, 0x7fffffff, v10
.LBB15_17:
	s_or_b32 exec_lo, exec_lo, s4
	v_or_b32_e32 v36, 0x500, v0
	s_delay_alu instid0(VALU_DEP_1) | instskip(NEXT) | instid1(VALU_DEP_1)
	v_cmp_gt_u32_e64 s3, s15, v36
	s_and_saveexec_b32 s5, s3
	s_cbranch_execz .LBB15_19
; %bb.18:
	v_add_co_u32 v11, s4, 0x2000, v33
	s_delay_alu instid0(VALU_DEP_1)
	v_add_co_ci_u32_e64 v12, s4, 0, v34, s4
	global_load_b64 v[11:12], v[11:12], off offset:2048
	s_waitcnt vmcnt(0)
	v_and_b32_e32 v12, 0x7fffffff, v12
.LBB15_19:
	;; [unrolled: 28-line block ×7, first 2 shown]
	s_or_b32 exec_lo, exec_lo, s24
	v_add_f64 v[3:4], v[1:2], v[3:4]
	s_delay_alu instid0(VALU_DEP_1) | instskip(SKIP_1) | instid1(VALU_DEP_2)
	v_dual_cndmask_b32 v2, v2, v4 :: v_dual_cndmask_b32 v1, v1, v3
	v_cmp_ne_u32_e32 vcc_lo, 31, v35
	v_add_f64 v[3:4], v[5:6], v[1:2]
	v_add_co_ci_u32_e32 v5, vcc_lo, 0, v35, vcc_lo
	v_add_nc_u32_e32 v6, 1, v35
	s_delay_alu instid0(VALU_DEP_2) | instskip(NEXT) | instid1(VALU_DEP_4)
	v_lshlrev_b32_e32 v5, 2, v5
	v_cndmask_b32_e64 v2, v2, v4, s0
	v_cndmask_b32_e64 v1, v1, v3, s0
	s_min_u32 s0, s15, 0x100
	s_delay_alu instid0(VALU_DEP_1) | instskip(NEXT) | instid1(VALU_DEP_1)
	v_add_f64 v[3:4], v[7:8], v[1:2]
	v_cndmask_b32_e64 v2, v2, v4, s1
	s_delay_alu instid0(VALU_DEP_2) | instskip(SKIP_1) | instid1(VALU_DEP_1)
	v_cndmask_b32_e64 v1, v1, v3, s1
	s_mov_b32 s1, exec_lo
	v_add_f64 v[3:4], v[9:10], v[1:2]
	s_delay_alu instid0(VALU_DEP_1) | instskip(NEXT) | instid1(VALU_DEP_2)
	v_cndmask_b32_e64 v2, v2, v4, s2
	v_cndmask_b32_e64 v1, v1, v3, s2
	s_delay_alu instid0(VALU_DEP_1) | instskip(NEXT) | instid1(VALU_DEP_1)
	v_add_f64 v[3:4], v[11:12], v[1:2]
	v_cndmask_b32_e64 v2, v2, v4, s3
	s_delay_alu instid0(VALU_DEP_2) | instskip(NEXT) | instid1(VALU_DEP_1)
	v_cndmask_b32_e64 v1, v1, v3, s3
	v_add_f64 v[3:4], v[13:14], v[1:2]
	s_delay_alu instid0(VALU_DEP_1) | instskip(NEXT) | instid1(VALU_DEP_2)
	v_cndmask_b32_e64 v2, v2, v4, s4
	v_cndmask_b32_e64 v1, v1, v3, s4
	s_delay_alu instid0(VALU_DEP_1) | instskip(NEXT) | instid1(VALU_DEP_1)
	v_add_f64 v[3:4], v[15:16], v[1:2]
	v_cndmask_b32_e64 v2, v2, v4, s5
	s_delay_alu instid0(VALU_DEP_2) | instskip(NEXT) | instid1(VALU_DEP_1)
	v_cndmask_b32_e64 v1, v1, v3, s5
	;; [unrolled: 9-line block ×5, first 2 shown]
	v_add_f64 v[3:4], v[29:30], v[1:2]
	s_delay_alu instid0(VALU_DEP_1) | instskip(NEXT) | instid1(VALU_DEP_2)
	v_cndmask_b32_e64 v2, v2, v4, s12
	v_cndmask_b32_e64 v1, v1, v3, s12
	s_delay_alu instid0(VALU_DEP_1) | instskip(NEXT) | instid1(VALU_DEP_1)
	v_add_f64 v[3:4], v[31:32], v[1:2]
	v_cndmask_b32_e64 v1, v1, v3, s13
	s_delay_alu instid0(VALU_DEP_2) | instskip(SKIP_3) | instid1(VALU_DEP_1)
	v_cndmask_b32_e64 v2, v2, v4, s13
	ds_bpermute_b32 v3, v5, v1
	ds_bpermute_b32 v4, v5, v2
	v_and_b32_e32 v5, 0xe0, v0
	v_sub_nc_u32_e64 v5, s0, v5 clamp
	s_delay_alu instid0(VALU_DEP_1)
	v_cmpx_lt_u32_e64 v6, v5
	s_cbranch_execz .LBB15_41
; %bb.40:
	s_waitcnt lgkmcnt(0)
	v_add_f64 v[1:2], v[1:2], v[3:4]
.LBB15_41:
	s_or_b32 exec_lo, exec_lo, s1
	v_cmp_gt_u32_e32 vcc_lo, 30, v35
	v_add_nc_u32_e32 v6, 2, v35
	s_mov_b32 s1, exec_lo
	s_waitcnt lgkmcnt(1)
	v_cndmask_b32_e64 v3, 0, 1, vcc_lo
	s_delay_alu instid0(VALU_DEP_1) | instskip(SKIP_1) | instid1(VALU_DEP_1)
	v_lshlrev_b32_e32 v3, 1, v3
	s_waitcnt lgkmcnt(0)
	v_add_lshl_u32 v4, v3, v35, 2
	ds_bpermute_b32 v3, v4, v1
	ds_bpermute_b32 v4, v4, v2
	v_cmpx_lt_u32_e64 v6, v5
	s_cbranch_execz .LBB15_43
; %bb.42:
	s_waitcnt lgkmcnt(0)
	v_add_f64 v[1:2], v[1:2], v[3:4]
.LBB15_43:
	s_or_b32 exec_lo, exec_lo, s1
	v_cmp_gt_u32_e32 vcc_lo, 28, v35
	v_add_nc_u32_e32 v6, 4, v35
	s_mov_b32 s1, exec_lo
	s_waitcnt lgkmcnt(1)
	v_cndmask_b32_e64 v3, 0, 1, vcc_lo
	s_delay_alu instid0(VALU_DEP_1) | instskip(SKIP_1) | instid1(VALU_DEP_1)
	v_lshlrev_b32_e32 v3, 2, v3
	s_waitcnt lgkmcnt(0)
	v_add_lshl_u32 v4, v3, v35, 2
	ds_bpermute_b32 v3, v4, v1
	ds_bpermute_b32 v4, v4, v2
	;; [unrolled: 18-line block ×4, first 2 shown]
	v_cmpx_lt_u32_e64 v6, v5
	s_cbranch_execz .LBB15_49
; %bb.48:
	s_waitcnt lgkmcnt(0)
	v_add_f64 v[1:2], v[1:2], v[3:4]
.LBB15_49:
	s_or_b32 exec_lo, exec_lo, s1
	s_delay_alu instid0(SALU_CYCLE_1)
	s_mov_b32 s1, exec_lo
	v_cmpx_eq_u32_e32 0, v35
	s_cbranch_execz .LBB15_51
; %bb.50:
	s_waitcnt lgkmcnt(1)
	v_lshrrev_b32_e32 v3, 2, v0
	s_delay_alu instid0(VALU_DEP_1)
	v_and_b32_e32 v3, 56, v3
	ds_store_b64 v3, v[1:2] offset:64
.LBB15_51:
	s_or_b32 exec_lo, exec_lo, s1
	s_delay_alu instid0(SALU_CYCLE_1)
	s_mov_b32 s1, exec_lo
	s_waitcnt lgkmcnt(0)
	s_barrier
	buffer_gl0_inv
	v_cmpx_gt_u32_e32 8, v0
	s_cbranch_execz .LBB15_59
; %bb.52:
	v_lshlrev_b32_e32 v1, 3, v35
	v_and_b32_e32 v5, 7, v35
	s_add_i32 s0, s0, 31
	s_mov_b32 s2, exec_lo
	s_lshr_b32 s0, s0, 5
	ds_load_b64 v[1:2], v1 offset:64
	v_cmp_ne_u32_e32 vcc_lo, 7, v5
	v_add_nc_u32_e32 v6, 1, v5
	v_add_co_ci_u32_e32 v3, vcc_lo, 0, v35, vcc_lo
	s_delay_alu instid0(VALU_DEP_1)
	v_lshlrev_b32_e32 v4, 2, v3
	s_waitcnt lgkmcnt(0)
	ds_bpermute_b32 v3, v4, v1
	ds_bpermute_b32 v4, v4, v2
	v_cmpx_gt_u32_e64 s0, v6
	s_cbranch_execz .LBB15_54
; %bb.53:
	s_waitcnt lgkmcnt(0)
	v_add_f64 v[1:2], v[1:2], v[3:4]
.LBB15_54:
	s_or_b32 exec_lo, exec_lo, s2
	v_cmp_gt_u32_e32 vcc_lo, 6, v5
	v_add_nc_u32_e32 v6, 2, v5
	s_mov_b32 s2, exec_lo
	s_waitcnt lgkmcnt(1)
	v_cndmask_b32_e64 v3, 0, 1, vcc_lo
	s_delay_alu instid0(VALU_DEP_1) | instskip(SKIP_1) | instid1(VALU_DEP_1)
	v_lshlrev_b32_e32 v3, 1, v3
	s_waitcnt lgkmcnt(0)
	v_add_lshl_u32 v4, v3, v35, 2
	ds_bpermute_b32 v3, v4, v1
	ds_bpermute_b32 v4, v4, v2
	v_cmpx_gt_u32_e64 s0, v6
	s_cbranch_execz .LBB15_56
; %bb.55:
	s_waitcnt lgkmcnt(0)
	v_add_f64 v[1:2], v[1:2], v[3:4]
.LBB15_56:
	s_or_b32 exec_lo, exec_lo, s2
	v_cmp_gt_u32_e32 vcc_lo, 4, v5
	v_add_nc_u32_e32 v5, 4, v5
	s_waitcnt lgkmcnt(1)
	v_cndmask_b32_e64 v3, 0, 1, vcc_lo
	s_delay_alu instid0(VALU_DEP_2) | instskip(NEXT) | instid1(VALU_DEP_2)
	v_cmp_gt_u32_e32 vcc_lo, s0, v5
	v_lshlrev_b32_e32 v3, 2, v3
	s_waitcnt lgkmcnt(0)
	s_delay_alu instid0(VALU_DEP_1)
	v_add_lshl_u32 v4, v3, v35, 2
	ds_bpermute_b32 v3, v4, v1
	ds_bpermute_b32 v4, v4, v2
	s_and_saveexec_b32 s0, vcc_lo
	s_cbranch_execz .LBB15_58
; %bb.57:
	s_waitcnt lgkmcnt(0)
	v_add_f64 v[1:2], v[1:2], v[3:4]
.LBB15_58:
	s_or_b32 exec_lo, exec_lo, s0
.LBB15_59:
	s_delay_alu instid0(SALU_CYCLE_1)
	s_or_b32 exec_lo, exec_lo, s1
.LBB15_60:
	s_delay_alu instid0(SALU_CYCLE_1)
	s_mov_b32 s0, exec_lo
	v_cmpx_eq_u32_e32 0, v0
	s_cbranch_execz .LBB15_62
; %bb.61:
	s_delay_alu instid0(VALU_DEP_2)
	v_add_f64 v[0:1], v[1:2], s[20:21]
	s_lshl_b64 s[0:1], s[22:23], 3
	v_mov_b32_e32 v2, 0
	s_add_u32 s0, s18, s0
	s_addc_u32 s1, s19, s1
	s_cmp_eq_u64 s[16:17], 0
	s_cselect_b32 s2, -1, 0
	s_delay_alu instid0(VALU_DEP_2) | instid1(SALU_CYCLE_1)
	v_cndmask_b32_e64 v1, v1, s21, s2
	s_delay_alu instid0(VALU_DEP_3)
	v_cndmask_b32_e64 v0, v0, s20, s2
	global_store_b64 v2, v[0:1], s[0:1]
.LBB15_62:
	s_nop 0
	s_sendmsg sendmsg(MSG_DEALLOC_VGPRS)
	s_endpgm
	.section	.rodata,"a",@progbits
	.p2align	6, 0x0
	.amdhsa_kernel _ZN7rocprim6detail19block_reduce_kernelILb1ELb1ELj4ENS0_21wrapped_reduce_configINS_14default_configEdEEdN6thrust11hip_rocprim26transform_input_iterator_tIdNS5_6detail15normal_iteratorINS5_10device_ptrIdEEEEZ4mainEUldE_EEPddNS5_4plusIdEEEEvT4_mT5_T6_T7_
		.amdhsa_group_segment_fixed_size 128
		.amdhsa_private_segment_fixed_size 0
		.amdhsa_kernarg_size 44
		.amdhsa_user_sgpr_count 15
		.amdhsa_user_sgpr_dispatch_ptr 0
		.amdhsa_user_sgpr_queue_ptr 0
		.amdhsa_user_sgpr_kernarg_segment_ptr 1
		.amdhsa_user_sgpr_dispatch_id 0
		.amdhsa_user_sgpr_private_segment_size 0
		.amdhsa_wavefront_size32 1
		.amdhsa_uses_dynamic_stack 0
		.amdhsa_enable_private_segment 0
		.amdhsa_system_sgpr_workgroup_id_x 1
		.amdhsa_system_sgpr_workgroup_id_y 0
		.amdhsa_system_sgpr_workgroup_id_z 0
		.amdhsa_system_sgpr_workgroup_info 0
		.amdhsa_system_vgpr_workitem_id 0
		.amdhsa_next_free_vgpr 37
		.amdhsa_next_free_sgpr 25
		.amdhsa_reserve_vcc 1
		.amdhsa_float_round_mode_32 0
		.amdhsa_float_round_mode_16_64 0
		.amdhsa_float_denorm_mode_32 3
		.amdhsa_float_denorm_mode_16_64 3
		.amdhsa_dx10_clamp 1
		.amdhsa_ieee_mode 1
		.amdhsa_fp16_overflow 0
		.amdhsa_workgroup_processor_mode 1
		.amdhsa_memory_ordered 1
		.amdhsa_forward_progress 0
		.amdhsa_shared_vgpr_count 0
		.amdhsa_exception_fp_ieee_invalid_op 0
		.amdhsa_exception_fp_denorm_src 0
		.amdhsa_exception_fp_ieee_div_zero 0
		.amdhsa_exception_fp_ieee_overflow 0
		.amdhsa_exception_fp_ieee_underflow 0
		.amdhsa_exception_fp_ieee_inexact 0
		.amdhsa_exception_int_div_zero 0
	.end_amdhsa_kernel
	.section	.text._ZN7rocprim6detail19block_reduce_kernelILb1ELb1ELj4ENS0_21wrapped_reduce_configINS_14default_configEdEEdN6thrust11hip_rocprim26transform_input_iterator_tIdNS5_6detail15normal_iteratorINS5_10device_ptrIdEEEEZ4mainEUldE_EEPddNS5_4plusIdEEEEvT4_mT5_T6_T7_,"axG",@progbits,_ZN7rocprim6detail19block_reduce_kernelILb1ELb1ELj4ENS0_21wrapped_reduce_configINS_14default_configEdEEdN6thrust11hip_rocprim26transform_input_iterator_tIdNS5_6detail15normal_iteratorINS5_10device_ptrIdEEEEZ4mainEUldE_EEPddNS5_4plusIdEEEEvT4_mT5_T6_T7_,comdat
.Lfunc_end15:
	.size	_ZN7rocprim6detail19block_reduce_kernelILb1ELb1ELj4ENS0_21wrapped_reduce_configINS_14default_configEdEEdN6thrust11hip_rocprim26transform_input_iterator_tIdNS5_6detail15normal_iteratorINS5_10device_ptrIdEEEEZ4mainEUldE_EEPddNS5_4plusIdEEEEvT4_mT5_T6_T7_, .Lfunc_end15-_ZN7rocprim6detail19block_reduce_kernelILb1ELb1ELj4ENS0_21wrapped_reduce_configINS_14default_configEdEEdN6thrust11hip_rocprim26transform_input_iterator_tIdNS5_6detail15normal_iteratorINS5_10device_ptrIdEEEEZ4mainEUldE_EEPddNS5_4plusIdEEEEvT4_mT5_T6_T7_
                                        ; -- End function
	.section	.AMDGPU.csdata,"",@progbits
; Kernel info:
; codeLenInByte = 3520
; NumSgprs: 27
; NumVgprs: 37
; ScratchSize: 0
; MemoryBound: 0
; FloatMode: 240
; IeeeMode: 1
; LDSByteSize: 128 bytes/workgroup (compile time only)
; SGPRBlocks: 3
; VGPRBlocks: 4
; NumSGPRsForWavesPerEU: 27
; NumVGPRsForWavesPerEU: 37
; Occupancy: 16
; WaveLimiterHint : 1
; COMPUTE_PGM_RSRC2:SCRATCH_EN: 0
; COMPUTE_PGM_RSRC2:USER_SGPR: 15
; COMPUTE_PGM_RSRC2:TRAP_HANDLER: 0
; COMPUTE_PGM_RSRC2:TGID_X_EN: 1
; COMPUTE_PGM_RSRC2:TGID_Y_EN: 0
; COMPUTE_PGM_RSRC2:TGID_Z_EN: 0
; COMPUTE_PGM_RSRC2:TIDIG_COMP_CNT: 0
	.section	.text._ZN7rocprim6detail19block_reduce_kernelILb1ELb1ELj8ENS0_21wrapped_reduce_configINS_14default_configEdEEdN6thrust11hip_rocprim26transform_input_iterator_tIdNS5_6detail15normal_iteratorINS5_10device_ptrIdEEEEZ4mainEUldE_EEPddNS5_4plusIdEEEEvT4_mT5_T6_T7_,"axG",@progbits,_ZN7rocprim6detail19block_reduce_kernelILb1ELb1ELj8ENS0_21wrapped_reduce_configINS_14default_configEdEEdN6thrust11hip_rocprim26transform_input_iterator_tIdNS5_6detail15normal_iteratorINS5_10device_ptrIdEEEEZ4mainEUldE_EEPddNS5_4plusIdEEEEvT4_mT5_T6_T7_,comdat
	.globl	_ZN7rocprim6detail19block_reduce_kernelILb1ELb1ELj8ENS0_21wrapped_reduce_configINS_14default_configEdEEdN6thrust11hip_rocprim26transform_input_iterator_tIdNS5_6detail15normal_iteratorINS5_10device_ptrIdEEEEZ4mainEUldE_EEPddNS5_4plusIdEEEEvT4_mT5_T6_T7_ ; -- Begin function _ZN7rocprim6detail19block_reduce_kernelILb1ELb1ELj8ENS0_21wrapped_reduce_configINS_14default_configEdEEdN6thrust11hip_rocprim26transform_input_iterator_tIdNS5_6detail15normal_iteratorINS5_10device_ptrIdEEEEZ4mainEUldE_EEPddNS5_4plusIdEEEEvT4_mT5_T6_T7_
	.p2align	8
	.type	_ZN7rocprim6detail19block_reduce_kernelILb1ELb1ELj8ENS0_21wrapped_reduce_configINS_14default_configEdEEdN6thrust11hip_rocprim26transform_input_iterator_tIdNS5_6detail15normal_iteratorINS5_10device_ptrIdEEEEZ4mainEUldE_EEPddNS5_4plusIdEEEEvT4_mT5_T6_T7_,@function
_ZN7rocprim6detail19block_reduce_kernelILb1ELb1ELj8ENS0_21wrapped_reduce_configINS_14default_configEdEEdN6thrust11hip_rocprim26transform_input_iterator_tIdNS5_6detail15normal_iteratorINS5_10device_ptrIdEEEEZ4mainEUldE_EEPddNS5_4plusIdEEEEvT4_mT5_T6_T7_: ; @_ZN7rocprim6detail19block_reduce_kernelILb1ELb1ELj8ENS0_21wrapped_reduce_configINS_14default_configEdEEdN6thrust11hip_rocprim26transform_input_iterator_tIdNS5_6detail15normal_iteratorINS5_10device_ptrIdEEEEZ4mainEUldE_EEPddNS5_4plusIdEEEEvT4_mT5_T6_T7_
; %bb.0:
	s_clause 0x2
	s_load_b128 s[36:39], s[0:1], 0x10
	s_load_b64 s[2:3], s[0:1], 0x0
	s_load_b64 s[34:35], s[0:1], 0x20
	s_mov_b32 s1, 0
	s_lshl_b32 s0, s15, 13
	v_lshlrev_b32_e32 v1, 3, v0
	s_lshl_b64 s[4:5], s[0:1], 3
	s_mov_b32 s41, s1
	v_mbcnt_lo_u32_b32 v67, -1, 0
	s_mov_b32 s40, s15
	s_waitcnt lgkmcnt(0)
	s_lshr_b64 s[6:7], s[36:37], 13
	s_add_u32 s1, s2, s4
	s_addc_u32 s2, s3, s5
	v_add_co_u32 v1, s1, s1, v1
	s_delay_alu instid0(VALU_DEP_1)
	v_add_co_ci_u32_e64 v2, null, s2, 0, s1
	s_cmp_lg_u64 s[6:7], s[40:41]
	s_cbranch_scc0 .LBB16_6
; %bb.1:
	s_clause 0x1
	global_load_b64 v[3:4], v[1:2], off
	global_load_b64 v[5:6], v[1:2], off offset:2048
	v_add_co_u32 v7, vcc_lo, v1, 0x2000
	v_add_co_ci_u32_e32 v8, vcc_lo, 0, v2, vcc_lo
	v_add_co_u32 v11, vcc_lo, 0x1000, v1
	v_add_co_ci_u32_e32 v12, vcc_lo, 0, v2, vcc_lo
	s_clause 0x2
	global_load_b64 v[9:10], v[7:8], off offset:-4096
	global_load_b64 v[11:12], v[11:12], off offset:2048
	global_load_b64 v[7:8], v[7:8], off
	v_add_co_u32 v13, vcc_lo, 0x2000, v1
	v_add_co_ci_u32_e32 v14, vcc_lo, 0, v2, vcc_lo
	v_add_co_u32 v15, vcc_lo, v1, 0x4000
	v_add_co_ci_u32_e32 v16, vcc_lo, 0, v2, vcc_lo
	global_load_b64 v[13:14], v[13:14], off offset:2048
	v_add_co_u32 v19, vcc_lo, 0x3000, v1
	global_load_b64 v[17:18], v[15:16], off offset:-4096
	v_add_co_ci_u32_e32 v20, vcc_lo, 0, v2, vcc_lo
	s_clause 0x1
	global_load_b64 v[19:20], v[19:20], off offset:2048
	global_load_b64 v[15:16], v[15:16], off
	v_add_co_u32 v21, vcc_lo, 0x4000, v1
	v_add_co_ci_u32_e32 v22, vcc_lo, 0, v2, vcc_lo
	s_mov_b32 s1, exec_lo
	global_load_b64 v[21:22], v[21:22], off offset:2048
	s_waitcnt vmcnt(8)
	v_add_f64 v[3:4], |v[3:4]|, |v[5:6]|
	v_add_co_u32 v5, vcc_lo, v1, 0x6000
	v_add_co_ci_u32_e32 v6, vcc_lo, 0, v2, vcc_lo
	v_add_co_u32 v25, vcc_lo, 0xf000, v1
	v_add_co_ci_u32_e32 v26, vcc_lo, 0, v2, vcc_lo
	s_clause 0x1
	global_load_b64 v[23:24], v[5:6], off offset:-4096
	global_load_b64 v[27:28], v[25:26], off offset:2048
	s_waitcnt vmcnt(9)
	v_add_f64 v[3:4], v[3:4], |v[9:10]|
	v_add_co_u32 v9, vcc_lo, 0x5000, v1
	v_add_co_ci_u32_e32 v10, vcc_lo, 0, v2, vcc_lo
	global_load_b64 v[9:10], v[9:10], off offset:2048
	s_waitcnt vmcnt(9)
	v_add_f64 v[3:4], v[3:4], |v[11:12]|
	s_waitcnt vmcnt(8)
	s_delay_alu instid0(VALU_DEP_1)
	v_add_f64 v[3:4], v[3:4], |v[7:8]|
	v_add_co_u32 v7, vcc_lo, 0x6000, v1
	v_add_co_ci_u32_e32 v8, vcc_lo, 0, v2, vcc_lo
	v_add_co_u32 v11, vcc_lo, v1, 0x8000
	v_add_co_ci_u32_e32 v12, vcc_lo, 0, v2, vcc_lo
	global_load_b64 v[7:8], v[7:8], off offset:2048
	s_waitcnt vmcnt(8)
	v_add_f64 v[3:4], v[3:4], |v[13:14]|
	global_load_b64 v[13:14], v[11:12], off offset:-4096
	s_waitcnt vmcnt(8)
	v_add_f64 v[3:4], v[3:4], |v[17:18]|
	v_add_co_u32 v17, vcc_lo, 0x7000, v1
	v_add_co_ci_u32_e32 v18, vcc_lo, 0, v2, vcc_lo
	global_load_b64 v[17:18], v[17:18], off offset:2048
	s_waitcnt vmcnt(8)
	v_add_f64 v[3:4], v[3:4], |v[19:20]|
	s_waitcnt vmcnt(7)
	s_delay_alu instid0(VALU_DEP_1)
	v_add_f64 v[3:4], v[3:4], |v[15:16]|
	v_add_co_u32 v15, vcc_lo, 0x8000, v1
	v_add_co_ci_u32_e32 v16, vcc_lo, 0, v2, vcc_lo
	v_add_co_u32 v19, vcc_lo, v1, 0xa000
	v_add_co_ci_u32_e32 v20, vcc_lo, 0, v2, vcc_lo
	s_clause 0x2
	global_load_b64 v[15:16], v[15:16], off offset:2048
	global_load_b64 v[11:12], v[11:12], off
	global_load_b64 v[5:6], v[5:6], off
	s_waitcnt vmcnt(9)
	v_add_f64 v[3:4], v[3:4], |v[21:22]|
	global_load_b64 v[21:22], v[19:20], off offset:-4096
	s_waitcnt vmcnt(9)
	v_add_f64 v[3:4], v[3:4], |v[23:24]|
	v_add_co_u32 v23, vcc_lo, 0x9000, v1
	v_add_co_ci_u32_e32 v24, vcc_lo, 0, v2, vcc_lo
	global_load_b64 v[23:24], v[23:24], off offset:2048
	s_waitcnt vmcnt(8)
	v_add_f64 v[3:4], v[3:4], |v[9:10]|
	global_load_b64 v[9:10], v[19:20], off
	s_waitcnt vmcnt(3)
	v_add_f64 v[3:4], v[3:4], |v[5:6]|
	v_add_co_u32 v5, vcc_lo, 0xa000, v1
	v_add_co_ci_u32_e32 v6, vcc_lo, 0, v2, vcc_lo
	global_load_b64 v[5:6], v[5:6], off offset:2048
	v_add_f64 v[3:4], v[3:4], |v[7:8]|
	v_add_co_u32 v7, vcc_lo, v1, 0xc000
	v_add_co_ci_u32_e32 v8, vcc_lo, 0, v2, vcc_lo
	global_load_b64 v[19:20], v[7:8], off offset:-4096
	v_add_f64 v[3:4], v[3:4], |v[13:14]|
	v_add_co_u32 v13, vcc_lo, 0xb000, v1
	v_add_co_ci_u32_e32 v14, vcc_lo, 0, v2, vcc_lo
	global_load_b64 v[13:14], v[13:14], off offset:2048
	v_add_f64 v[3:4], v[3:4], |v[17:18]|
	s_delay_alu instid0(VALU_DEP_1)
	v_add_f64 v[3:4], v[3:4], |v[11:12]|
	v_add_co_u32 v11, vcc_lo, 0xc000, v1
	v_add_co_ci_u32_e32 v12, vcc_lo, 0, v2, vcc_lo
	global_load_b64 v[11:12], v[11:12], off offset:2048
	v_add_f64 v[3:4], v[3:4], |v[15:16]|
	v_add_co_u32 v15, vcc_lo, v1, 0xe000
	v_add_co_ci_u32_e32 v16, vcc_lo, 0, v2, vcc_lo
	global_load_b64 v[17:18], v[15:16], off offset:-4096
	s_waitcnt vmcnt(7)
	v_add_f64 v[3:4], v[3:4], |v[21:22]|
	v_add_co_u32 v21, vcc_lo, 0xd000, v1
	v_add_co_ci_u32_e32 v22, vcc_lo, 0, v2, vcc_lo
	s_clause 0x1
	global_load_b64 v[21:22], v[21:22], off offset:2048
	global_load_b64 v[15:16], v[15:16], off
	s_waitcnt vmcnt(8)
	v_add_f64 v[3:4], v[3:4], |v[23:24]|
	s_waitcnt vmcnt(7)
	s_delay_alu instid0(VALU_DEP_1)
	v_add_f64 v[3:4], v[3:4], |v[9:10]|
	v_add_co_u32 v9, vcc_lo, 0xe000, v1
	v_add_co_ci_u32_e32 v10, vcc_lo, 0, v2, vcc_lo
	s_clause 0x1
	global_load_b64 v[9:10], v[9:10], off offset:2048
	global_load_b64 v[7:8], v[7:8], off
	s_waitcnt vmcnt(8)
	v_add_f64 v[3:4], v[3:4], |v[5:6]|
	global_load_b64 v[5:6], v[25:26], off
	s_waitcnt vmcnt(8)
	v_add_f64 v[3:4], v[3:4], |v[19:20]|
	s_waitcnt vmcnt(7)
	s_delay_alu instid0(VALU_DEP_1) | instskip(SKIP_1) | instid1(VALU_DEP_1)
	v_add_f64 v[3:4], v[3:4], |v[13:14]|
	s_waitcnt vmcnt(1)
	v_add_f64 v[3:4], v[3:4], |v[7:8]|
	s_delay_alu instid0(VALU_DEP_1) | instskip(NEXT) | instid1(VALU_DEP_1)
	v_add_f64 v[3:4], v[3:4], |v[11:12]|
	v_add_f64 v[3:4], v[3:4], |v[17:18]|
	s_delay_alu instid0(VALU_DEP_1) | instskip(NEXT) | instid1(VALU_DEP_1)
	v_add_f64 v[3:4], v[3:4], |v[21:22]|
	v_add_f64 v[3:4], v[3:4], |v[15:16]|
	s_delay_alu instid0(VALU_DEP_1) | instskip(SKIP_1) | instid1(VALU_DEP_1)
	v_add_f64 v[3:4], v[3:4], |v[9:10]|
	s_waitcnt vmcnt(0)
	v_add_f64 v[3:4], v[3:4], |v[5:6]|
	s_delay_alu instid0(VALU_DEP_1) | instskip(NEXT) | instid1(VALU_DEP_1)
	v_add_f64 v[3:4], v[3:4], |v[27:28]|
	v_mov_b32_dpp v5, v3 quad_perm:[1,0,3,2] row_mask:0xf bank_mask:0xf
	s_delay_alu instid0(VALU_DEP_2) | instskip(NEXT) | instid1(VALU_DEP_1)
	v_mov_b32_dpp v6, v4 quad_perm:[1,0,3,2] row_mask:0xf bank_mask:0xf
	v_add_f64 v[3:4], v[3:4], v[5:6]
	s_delay_alu instid0(VALU_DEP_1) | instskip(NEXT) | instid1(VALU_DEP_2)
	v_mov_b32_dpp v5, v3 quad_perm:[2,3,0,1] row_mask:0xf bank_mask:0xf
	v_mov_b32_dpp v6, v4 quad_perm:[2,3,0,1] row_mask:0xf bank_mask:0xf
	s_delay_alu instid0(VALU_DEP_1) | instskip(NEXT) | instid1(VALU_DEP_1)
	v_add_f64 v[3:4], v[3:4], v[5:6]
	v_mov_b32_dpp v5, v3 row_ror:4 row_mask:0xf bank_mask:0xf
	s_delay_alu instid0(VALU_DEP_2) | instskip(NEXT) | instid1(VALU_DEP_1)
	v_mov_b32_dpp v6, v4 row_ror:4 row_mask:0xf bank_mask:0xf
	v_add_f64 v[3:4], v[3:4], v[5:6]
	s_delay_alu instid0(VALU_DEP_1) | instskip(NEXT) | instid1(VALU_DEP_2)
	v_mov_b32_dpp v5, v3 row_ror:8 row_mask:0xf bank_mask:0xf
	v_mov_b32_dpp v6, v4 row_ror:8 row_mask:0xf bank_mask:0xf
	s_delay_alu instid0(VALU_DEP_1)
	v_add_f64 v[3:4], v[3:4], v[5:6]
	ds_swizzle_b32 v5, v3 offset:swizzle(BROADCAST,32,15)
	ds_swizzle_b32 v6, v4 offset:swizzle(BROADCAST,32,15)
	s_waitcnt lgkmcnt(0)
	v_add_f64 v[3:4], v[3:4], v[5:6]
	v_mov_b32_e32 v5, 0
	ds_bpermute_b32 v3, v5, v3 offset:124
	ds_bpermute_b32 v4, v5, v4 offset:124
	v_cmpx_eq_u32_e32 0, v67
	s_cbranch_execz .LBB16_3
; %bb.2:
	v_lshrrev_b32_e32 v5, 2, v0
	s_delay_alu instid0(VALU_DEP_1)
	v_and_b32_e32 v5, 56, v5
	s_waitcnt lgkmcnt(0)
	ds_store_b64 v5, v[3:4]
.LBB16_3:
	s_or_b32 exec_lo, exec_lo, s1
	s_delay_alu instid0(SALU_CYCLE_1)
	s_mov_b32 s1, exec_lo
	s_waitcnt lgkmcnt(0)
	s_barrier
	buffer_gl0_inv
	v_cmpx_gt_u32_e32 32, v0
	s_cbranch_execz .LBB16_5
; %bb.4:
	v_and_b32_e32 v7, 7, v67
	s_delay_alu instid0(VALU_DEP_1) | instskip(SKIP_4) | instid1(VALU_DEP_2)
	v_lshlrev_b32_e32 v3, 3, v7
	v_cmp_ne_u32_e32 vcc_lo, 7, v7
	ds_load_b64 v[3:4], v3
	v_add_co_ci_u32_e32 v5, vcc_lo, 0, v67, vcc_lo
	v_cmp_gt_u32_e32 vcc_lo, 6, v7
	v_lshlrev_b32_e32 v6, 2, v5
	s_waitcnt lgkmcnt(0)
	ds_bpermute_b32 v5, v6, v3
	ds_bpermute_b32 v6, v6, v4
	s_waitcnt lgkmcnt(0)
	v_add_f64 v[3:4], v[3:4], v[5:6]
	v_cndmask_b32_e64 v5, 0, 1, vcc_lo
	v_cmp_gt_u32_e32 vcc_lo, 4, v7
	s_delay_alu instid0(VALU_DEP_2) | instskip(NEXT) | instid1(VALU_DEP_1)
	v_lshlrev_b32_e32 v5, 1, v5
	v_add_lshl_u32 v6, v5, v67, 2
	ds_bpermute_b32 v5, v6, v3
	ds_bpermute_b32 v6, v6, v4
	s_waitcnt lgkmcnt(0)
	v_add_f64 v[3:4], v[3:4], v[5:6]
	v_cndmask_b32_e64 v5, 0, 1, vcc_lo
	s_delay_alu instid0(VALU_DEP_1) | instskip(NEXT) | instid1(VALU_DEP_1)
	v_lshlrev_b32_e32 v5, 2, v5
	v_add_lshl_u32 v6, v5, v67, 2
	ds_bpermute_b32 v5, v6, v3
	ds_bpermute_b32 v6, v6, v4
	s_waitcnt lgkmcnt(0)
	v_add_f64 v[3:4], v[3:4], v[5:6]
.LBB16_5:
	s_or_b32 exec_lo, exec_lo, s1
	s_branch .LBB16_92
.LBB16_6:
                                        ; implicit-def: $vgpr3_vgpr4
	s_cbranch_execz .LBB16_92
; %bb.7:
	s_sub_i32 s31, s36, s0
	s_mov_b32 s0, exec_lo
                                        ; implicit-def: $vgpr3_vgpr4
	v_cmpx_gt_u32_e64 s31, v0
	s_cbranch_execz .LBB16_9
; %bb.8:
	global_load_b64 v[3:4], v[1:2], off
	s_waitcnt vmcnt(0)
	v_and_b32_e32 v4, 0x7fffffff, v4
.LBB16_9:
	s_or_b32 exec_lo, exec_lo, s0
	v_or_b32_e32 v5, 0x100, v0
	s_delay_alu instid0(VALU_DEP_1)
	v_cmp_gt_u32_e32 vcc_lo, s31, v5
                                        ; implicit-def: $vgpr5_vgpr6
	s_and_saveexec_b32 s0, vcc_lo
	s_cbranch_execz .LBB16_11
; %bb.10:
	global_load_b64 v[5:6], v[1:2], off offset:2048
	s_waitcnt vmcnt(0)
	v_and_b32_e32 v6, 0x7fffffff, v6
.LBB16_11:
	s_or_b32 exec_lo, exec_lo, s0
	v_or_b32_e32 v7, 0x200, v0
	s_delay_alu instid0(VALU_DEP_1) | instskip(NEXT) | instid1(VALU_DEP_1)
	v_cmp_gt_u32_e64 s0, s31, v7
                                        ; implicit-def: $vgpr7_vgpr8
	s_and_saveexec_b32 s2, s0
	s_cbranch_execz .LBB16_13
; %bb.12:
	v_add_co_u32 v7, s1, 0x1000, v1
	s_delay_alu instid0(VALU_DEP_1)
	v_add_co_ci_u32_e64 v8, s1, 0, v2, s1
	global_load_b64 v[7:8], v[7:8], off
	s_waitcnt vmcnt(0)
	v_and_b32_e32 v8, 0x7fffffff, v8
.LBB16_13:
	s_or_b32 exec_lo, exec_lo, s2
	v_or_b32_e32 v9, 0x300, v0
	s_delay_alu instid0(VALU_DEP_1) | instskip(NEXT) | instid1(VALU_DEP_1)
	v_cmp_gt_u32_e64 s1, s31, v9
                                        ; implicit-def: $vgpr9_vgpr10
	s_and_saveexec_b32 s3, s1
	s_cbranch_execz .LBB16_15
; %bb.14:
	v_add_co_u32 v9, s2, 0x1000, v1
	s_delay_alu instid0(VALU_DEP_1)
	v_add_co_ci_u32_e64 v10, s2, 0, v2, s2
	global_load_b64 v[9:10], v[9:10], off offset:2048
	s_waitcnt vmcnt(0)
	v_and_b32_e32 v10, 0x7fffffff, v10
.LBB16_15:
	s_or_b32 exec_lo, exec_lo, s3
	v_or_b32_e32 v11, 0x400, v0
	s_delay_alu instid0(VALU_DEP_1) | instskip(NEXT) | instid1(VALU_DEP_1)
	v_cmp_gt_u32_e64 s2, s31, v11
                                        ; implicit-def: $vgpr11_vgpr12
	s_and_saveexec_b32 s4, s2
	s_cbranch_execz .LBB16_17
; %bb.16:
	v_add_co_u32 v11, s3, 0x2000, v1
	s_delay_alu instid0(VALU_DEP_1)
	v_add_co_ci_u32_e64 v12, s3, 0, v2, s3
	global_load_b64 v[11:12], v[11:12], off
	s_waitcnt vmcnt(0)
	v_and_b32_e32 v12, 0x7fffffff, v12
.LBB16_17:
	s_or_b32 exec_lo, exec_lo, s4
	v_or_b32_e32 v13, 0x500, v0
	s_delay_alu instid0(VALU_DEP_1) | instskip(NEXT) | instid1(VALU_DEP_1)
	v_cmp_gt_u32_e64 s3, s31, v13
                                        ; implicit-def: $vgpr13_vgpr14
	s_and_saveexec_b32 s5, s3
	s_cbranch_execz .LBB16_19
; %bb.18:
	v_add_co_u32 v13, s4, 0x2000, v1
	s_delay_alu instid0(VALU_DEP_1)
	v_add_co_ci_u32_e64 v14, s4, 0, v2, s4
	global_load_b64 v[13:14], v[13:14], off offset:2048
	s_waitcnt vmcnt(0)
	v_and_b32_e32 v14, 0x7fffffff, v14
.LBB16_19:
	s_or_b32 exec_lo, exec_lo, s5
	v_or_b32_e32 v15, 0x600, v0
	s_delay_alu instid0(VALU_DEP_1) | instskip(NEXT) | instid1(VALU_DEP_1)
	v_cmp_gt_u32_e64 s4, s31, v15
                                        ; implicit-def: $vgpr15_vgpr16
	s_and_saveexec_b32 s6, s4
	s_cbranch_execz .LBB16_21
; %bb.20:
	v_add_co_u32 v15, s5, 0x3000, v1
	s_delay_alu instid0(VALU_DEP_1)
	v_add_co_ci_u32_e64 v16, s5, 0, v2, s5
	global_load_b64 v[15:16], v[15:16], off
	s_waitcnt vmcnt(0)
	v_and_b32_e32 v16, 0x7fffffff, v16
.LBB16_21:
	s_or_b32 exec_lo, exec_lo, s6
	v_or_b32_e32 v17, 0x700, v0
	s_delay_alu instid0(VALU_DEP_1) | instskip(NEXT) | instid1(VALU_DEP_1)
	v_cmp_gt_u32_e64 s5, s31, v17
                                        ; implicit-def: $vgpr17_vgpr18
	s_and_saveexec_b32 s7, s5
	s_cbranch_execz .LBB16_23
; %bb.22:
	v_add_co_u32 v17, s6, 0x3000, v1
	s_delay_alu instid0(VALU_DEP_1)
	v_add_co_ci_u32_e64 v18, s6, 0, v2, s6
	global_load_b64 v[17:18], v[17:18], off offset:2048
	s_waitcnt vmcnt(0)
	v_and_b32_e32 v18, 0x7fffffff, v18
.LBB16_23:
	s_or_b32 exec_lo, exec_lo, s7
	v_or_b32_e32 v19, 0x800, v0
	s_delay_alu instid0(VALU_DEP_1) | instskip(NEXT) | instid1(VALU_DEP_1)
	v_cmp_gt_u32_e64 s6, s31, v19
                                        ; implicit-def: $vgpr19_vgpr20
	s_and_saveexec_b32 s8, s6
	s_cbranch_execz .LBB16_25
; %bb.24:
	v_add_co_u32 v19, s7, 0x4000, v1
	s_delay_alu instid0(VALU_DEP_1)
	v_add_co_ci_u32_e64 v20, s7, 0, v2, s7
	global_load_b64 v[19:20], v[19:20], off
	s_waitcnt vmcnt(0)
	v_and_b32_e32 v20, 0x7fffffff, v20
.LBB16_25:
	s_or_b32 exec_lo, exec_lo, s8
	v_or_b32_e32 v21, 0x900, v0
	s_delay_alu instid0(VALU_DEP_1) | instskip(NEXT) | instid1(VALU_DEP_1)
	v_cmp_gt_u32_e64 s7, s31, v21
                                        ; implicit-def: $vgpr21_vgpr22
	s_and_saveexec_b32 s9, s7
	s_cbranch_execz .LBB16_27
; %bb.26:
	v_add_co_u32 v21, s8, 0x4000, v1
	s_delay_alu instid0(VALU_DEP_1)
	v_add_co_ci_u32_e64 v22, s8, 0, v2, s8
	global_load_b64 v[21:22], v[21:22], off offset:2048
	s_waitcnt vmcnt(0)
	v_and_b32_e32 v22, 0x7fffffff, v22
.LBB16_27:
	s_or_b32 exec_lo, exec_lo, s9
	v_or_b32_e32 v23, 0xa00, v0
	s_delay_alu instid0(VALU_DEP_1) | instskip(NEXT) | instid1(VALU_DEP_1)
	v_cmp_gt_u32_e64 s8, s31, v23
                                        ; implicit-def: $vgpr23_vgpr24
	s_and_saveexec_b32 s10, s8
	s_cbranch_execz .LBB16_29
; %bb.28:
	v_add_co_u32 v23, s9, 0x5000, v1
	s_delay_alu instid0(VALU_DEP_1)
	v_add_co_ci_u32_e64 v24, s9, 0, v2, s9
	global_load_b64 v[23:24], v[23:24], off
	s_waitcnt vmcnt(0)
	v_and_b32_e32 v24, 0x7fffffff, v24
.LBB16_29:
	s_or_b32 exec_lo, exec_lo, s10
	v_or_b32_e32 v25, 0xb00, v0
	s_delay_alu instid0(VALU_DEP_1) | instskip(NEXT) | instid1(VALU_DEP_1)
	v_cmp_gt_u32_e64 s9, s31, v25
                                        ; implicit-def: $vgpr25_vgpr26
	s_and_saveexec_b32 s11, s9
	s_cbranch_execz .LBB16_31
; %bb.30:
	v_add_co_u32 v25, s10, 0x5000, v1
	s_delay_alu instid0(VALU_DEP_1)
	v_add_co_ci_u32_e64 v26, s10, 0, v2, s10
	global_load_b64 v[25:26], v[25:26], off offset:2048
	s_waitcnt vmcnt(0)
	v_and_b32_e32 v26, 0x7fffffff, v26
.LBB16_31:
	s_or_b32 exec_lo, exec_lo, s11
	v_or_b32_e32 v27, 0xc00, v0
	s_delay_alu instid0(VALU_DEP_1) | instskip(NEXT) | instid1(VALU_DEP_1)
	v_cmp_gt_u32_e64 s10, s31, v27
                                        ; implicit-def: $vgpr27_vgpr28
	s_and_saveexec_b32 s12, s10
	s_cbranch_execz .LBB16_33
; %bb.32:
	v_add_co_u32 v27, s11, 0x6000, v1
	s_delay_alu instid0(VALU_DEP_1)
	v_add_co_ci_u32_e64 v28, s11, 0, v2, s11
	global_load_b64 v[27:28], v[27:28], off
	s_waitcnt vmcnt(0)
	v_and_b32_e32 v28, 0x7fffffff, v28
.LBB16_33:
	s_or_b32 exec_lo, exec_lo, s12
	v_or_b32_e32 v29, 0xd00, v0
	s_delay_alu instid0(VALU_DEP_1) | instskip(NEXT) | instid1(VALU_DEP_1)
	v_cmp_gt_u32_e64 s11, s31, v29
                                        ; implicit-def: $vgpr29_vgpr30
	s_and_saveexec_b32 s13, s11
	s_cbranch_execz .LBB16_35
; %bb.34:
	v_add_co_u32 v29, s12, 0x6000, v1
	s_delay_alu instid0(VALU_DEP_1)
	v_add_co_ci_u32_e64 v30, s12, 0, v2, s12
	global_load_b64 v[29:30], v[29:30], off offset:2048
	s_waitcnt vmcnt(0)
	v_and_b32_e32 v30, 0x7fffffff, v30
.LBB16_35:
	s_or_b32 exec_lo, exec_lo, s13
	v_or_b32_e32 v31, 0xe00, v0
	s_delay_alu instid0(VALU_DEP_1) | instskip(NEXT) | instid1(VALU_DEP_1)
	v_cmp_gt_u32_e64 s12, s31, v31
                                        ; implicit-def: $vgpr31_vgpr32
	s_and_saveexec_b32 s14, s12
	s_cbranch_execz .LBB16_37
; %bb.36:
	v_add_co_u32 v31, s13, 0x7000, v1
	s_delay_alu instid0(VALU_DEP_1)
	v_add_co_ci_u32_e64 v32, s13, 0, v2, s13
	global_load_b64 v[31:32], v[31:32], off
	s_waitcnt vmcnt(0)
	v_and_b32_e32 v32, 0x7fffffff, v32
.LBB16_37:
	s_or_b32 exec_lo, exec_lo, s14
	v_or_b32_e32 v33, 0xf00, v0
	s_delay_alu instid0(VALU_DEP_1) | instskip(NEXT) | instid1(VALU_DEP_1)
	v_cmp_gt_u32_e64 s13, s31, v33
                                        ; implicit-def: $vgpr33_vgpr34
	s_and_saveexec_b32 s15, s13
	s_cbranch_execz .LBB16_39
; %bb.38:
	v_add_co_u32 v33, s14, 0x7000, v1
	s_delay_alu instid0(VALU_DEP_1)
	v_add_co_ci_u32_e64 v34, s14, 0, v2, s14
	global_load_b64 v[33:34], v[33:34], off offset:2048
	s_waitcnt vmcnt(0)
	v_and_b32_e32 v34, 0x7fffffff, v34
.LBB16_39:
	s_or_b32 exec_lo, exec_lo, s15
	v_or_b32_e32 v35, 0x1000, v0
	s_delay_alu instid0(VALU_DEP_1) | instskip(NEXT) | instid1(VALU_DEP_1)
	v_cmp_gt_u32_e64 s14, s31, v35
                                        ; implicit-def: $vgpr35_vgpr36
	s_and_saveexec_b32 s16, s14
	s_cbranch_execz .LBB16_41
; %bb.40:
	v_add_co_u32 v35, s15, 0x8000, v1
	s_delay_alu instid0(VALU_DEP_1)
	v_add_co_ci_u32_e64 v36, s15, 0, v2, s15
	global_load_b64 v[35:36], v[35:36], off
	s_waitcnt vmcnt(0)
	v_and_b32_e32 v36, 0x7fffffff, v36
.LBB16_41:
	s_or_b32 exec_lo, exec_lo, s16
	v_or_b32_e32 v37, 0x1100, v0
	s_delay_alu instid0(VALU_DEP_1) | instskip(NEXT) | instid1(VALU_DEP_1)
	v_cmp_gt_u32_e64 s15, s31, v37
                                        ; implicit-def: $vgpr37_vgpr38
	s_and_saveexec_b32 s17, s15
	s_cbranch_execz .LBB16_43
; %bb.42:
	v_add_co_u32 v37, s16, 0x8000, v1
	s_delay_alu instid0(VALU_DEP_1)
	v_add_co_ci_u32_e64 v38, s16, 0, v2, s16
	global_load_b64 v[37:38], v[37:38], off offset:2048
	s_waitcnt vmcnt(0)
	v_and_b32_e32 v38, 0x7fffffff, v38
.LBB16_43:
	s_or_b32 exec_lo, exec_lo, s17
	v_or_b32_e32 v39, 0x1200, v0
	s_delay_alu instid0(VALU_DEP_1) | instskip(NEXT) | instid1(VALU_DEP_1)
	v_cmp_gt_u32_e64 s16, s31, v39
                                        ; implicit-def: $vgpr39_vgpr40
	s_and_saveexec_b32 s18, s16
	s_cbranch_execz .LBB16_45
; %bb.44:
	v_add_co_u32 v39, s17, 0x9000, v1
	s_delay_alu instid0(VALU_DEP_1)
	v_add_co_ci_u32_e64 v40, s17, 0, v2, s17
	global_load_b64 v[39:40], v[39:40], off
	s_waitcnt vmcnt(0)
	v_and_b32_e32 v40, 0x7fffffff, v40
.LBB16_45:
	s_or_b32 exec_lo, exec_lo, s18
	v_or_b32_e32 v41, 0x1300, v0
	s_delay_alu instid0(VALU_DEP_1) | instskip(NEXT) | instid1(VALU_DEP_1)
	v_cmp_gt_u32_e64 s17, s31, v41
                                        ; implicit-def: $vgpr41_vgpr42
	s_and_saveexec_b32 s19, s17
	s_cbranch_execz .LBB16_47
; %bb.46:
	v_add_co_u32 v41, s18, 0x9000, v1
	s_delay_alu instid0(VALU_DEP_1)
	v_add_co_ci_u32_e64 v42, s18, 0, v2, s18
	global_load_b64 v[41:42], v[41:42], off offset:2048
	s_waitcnt vmcnt(0)
	v_and_b32_e32 v42, 0x7fffffff, v42
.LBB16_47:
	s_or_b32 exec_lo, exec_lo, s19
	v_or_b32_e32 v43, 0x1400, v0
	s_delay_alu instid0(VALU_DEP_1) | instskip(NEXT) | instid1(VALU_DEP_1)
	v_cmp_gt_u32_e64 s18, s31, v43
                                        ; implicit-def: $vgpr43_vgpr44
	s_and_saveexec_b32 s20, s18
	s_cbranch_execz .LBB16_49
; %bb.48:
	v_add_co_u32 v43, s19, 0xa000, v1
	s_delay_alu instid0(VALU_DEP_1)
	v_add_co_ci_u32_e64 v44, s19, 0, v2, s19
	global_load_b64 v[43:44], v[43:44], off
	s_waitcnt vmcnt(0)
	v_and_b32_e32 v44, 0x7fffffff, v44
.LBB16_49:
	s_or_b32 exec_lo, exec_lo, s20
	v_or_b32_e32 v45, 0x1500, v0
	s_delay_alu instid0(VALU_DEP_1) | instskip(NEXT) | instid1(VALU_DEP_1)
	v_cmp_gt_u32_e64 s19, s31, v45
                                        ; implicit-def: $vgpr45_vgpr46
	s_and_saveexec_b32 s21, s19
	s_cbranch_execz .LBB16_51
; %bb.50:
	v_add_co_u32 v45, s20, 0xa000, v1
	s_delay_alu instid0(VALU_DEP_1)
	v_add_co_ci_u32_e64 v46, s20, 0, v2, s20
	global_load_b64 v[45:46], v[45:46], off offset:2048
	s_waitcnt vmcnt(0)
	v_and_b32_e32 v46, 0x7fffffff, v46
.LBB16_51:
	s_or_b32 exec_lo, exec_lo, s21
	v_or_b32_e32 v47, 0x1600, v0
	s_delay_alu instid0(VALU_DEP_1) | instskip(NEXT) | instid1(VALU_DEP_1)
	v_cmp_gt_u32_e64 s20, s31, v47
                                        ; implicit-def: $vgpr47_vgpr48
	s_and_saveexec_b32 s22, s20
	s_cbranch_execz .LBB16_53
; %bb.52:
	v_add_co_u32 v47, s21, 0xb000, v1
	s_delay_alu instid0(VALU_DEP_1)
	v_add_co_ci_u32_e64 v48, s21, 0, v2, s21
	global_load_b64 v[47:48], v[47:48], off
	s_waitcnt vmcnt(0)
	v_and_b32_e32 v48, 0x7fffffff, v48
.LBB16_53:
	s_or_b32 exec_lo, exec_lo, s22
	v_or_b32_e32 v49, 0x1700, v0
	s_delay_alu instid0(VALU_DEP_1) | instskip(NEXT) | instid1(VALU_DEP_1)
	v_cmp_gt_u32_e64 s21, s31, v49
                                        ; implicit-def: $vgpr49_vgpr50
	s_and_saveexec_b32 s23, s21
	s_cbranch_execz .LBB16_55
; %bb.54:
	v_add_co_u32 v49, s22, 0xb000, v1
	s_delay_alu instid0(VALU_DEP_1)
	v_add_co_ci_u32_e64 v50, s22, 0, v2, s22
	global_load_b64 v[49:50], v[49:50], off offset:2048
	s_waitcnt vmcnt(0)
	v_and_b32_e32 v50, 0x7fffffff, v50
.LBB16_55:
	s_or_b32 exec_lo, exec_lo, s23
	v_or_b32_e32 v51, 0x1800, v0
	s_delay_alu instid0(VALU_DEP_1) | instskip(NEXT) | instid1(VALU_DEP_1)
	v_cmp_gt_u32_e64 s22, s31, v51
                                        ; implicit-def: $vgpr51_vgpr52
	s_and_saveexec_b32 s24, s22
	s_cbranch_execz .LBB16_57
; %bb.56:
	v_add_co_u32 v51, s23, 0xc000, v1
	s_delay_alu instid0(VALU_DEP_1)
	v_add_co_ci_u32_e64 v52, s23, 0, v2, s23
	global_load_b64 v[51:52], v[51:52], off
	s_waitcnt vmcnt(0)
	v_and_b32_e32 v52, 0x7fffffff, v52
.LBB16_57:
	s_or_b32 exec_lo, exec_lo, s24
	v_or_b32_e32 v53, 0x1900, v0
	s_delay_alu instid0(VALU_DEP_1) | instskip(NEXT) | instid1(VALU_DEP_1)
	v_cmp_gt_u32_e64 s23, s31, v53
                                        ; implicit-def: $vgpr53_vgpr54
	s_and_saveexec_b32 s25, s23
	s_cbranch_execz .LBB16_59
; %bb.58:
	v_add_co_u32 v53, s24, 0xc000, v1
	s_delay_alu instid0(VALU_DEP_1)
	v_add_co_ci_u32_e64 v54, s24, 0, v2, s24
	global_load_b64 v[53:54], v[53:54], off offset:2048
	s_waitcnt vmcnt(0)
	v_and_b32_e32 v54, 0x7fffffff, v54
.LBB16_59:
	s_or_b32 exec_lo, exec_lo, s25
	v_or_b32_e32 v55, 0x1a00, v0
	s_delay_alu instid0(VALU_DEP_1) | instskip(NEXT) | instid1(VALU_DEP_1)
	v_cmp_gt_u32_e64 s24, s31, v55
                                        ; implicit-def: $vgpr55_vgpr56
	s_and_saveexec_b32 s26, s24
	s_cbranch_execz .LBB16_61
; %bb.60:
	v_add_co_u32 v55, s25, 0xd000, v1
	s_delay_alu instid0(VALU_DEP_1)
	v_add_co_ci_u32_e64 v56, s25, 0, v2, s25
	global_load_b64 v[55:56], v[55:56], off
	s_waitcnt vmcnt(0)
	v_and_b32_e32 v56, 0x7fffffff, v56
.LBB16_61:
	s_or_b32 exec_lo, exec_lo, s26
	v_or_b32_e32 v57, 0x1b00, v0
	s_delay_alu instid0(VALU_DEP_1) | instskip(NEXT) | instid1(VALU_DEP_1)
	v_cmp_gt_u32_e64 s25, s31, v57
                                        ; implicit-def: $vgpr57_vgpr58
	s_and_saveexec_b32 s27, s25
	s_cbranch_execz .LBB16_63
; %bb.62:
	v_add_co_u32 v57, s26, 0xd000, v1
	s_delay_alu instid0(VALU_DEP_1)
	v_add_co_ci_u32_e64 v58, s26, 0, v2, s26
	global_load_b64 v[57:58], v[57:58], off offset:2048
	s_waitcnt vmcnt(0)
	v_and_b32_e32 v58, 0x7fffffff, v58
.LBB16_63:
	s_or_b32 exec_lo, exec_lo, s27
	v_or_b32_e32 v59, 0x1c00, v0
	s_delay_alu instid0(VALU_DEP_1) | instskip(NEXT) | instid1(VALU_DEP_1)
	v_cmp_gt_u32_e64 s26, s31, v59
                                        ; implicit-def: $vgpr59_vgpr60
	s_and_saveexec_b32 s28, s26
	s_cbranch_execz .LBB16_65
; %bb.64:
	v_add_co_u32 v59, s27, 0xe000, v1
	s_delay_alu instid0(VALU_DEP_1)
	v_add_co_ci_u32_e64 v60, s27, 0, v2, s27
	global_load_b64 v[59:60], v[59:60], off
	s_waitcnt vmcnt(0)
	v_and_b32_e32 v60, 0x7fffffff, v60
.LBB16_65:
	s_or_b32 exec_lo, exec_lo, s28
	v_or_b32_e32 v61, 0x1d00, v0
	s_delay_alu instid0(VALU_DEP_1) | instskip(NEXT) | instid1(VALU_DEP_1)
	v_cmp_gt_u32_e64 s27, s31, v61
                                        ; implicit-def: $vgpr61_vgpr62
	s_and_saveexec_b32 s29, s27
	s_cbranch_execz .LBB16_67
; %bb.66:
	v_add_co_u32 v61, s28, 0xe000, v1
	s_delay_alu instid0(VALU_DEP_1)
	v_add_co_ci_u32_e64 v62, s28, 0, v2, s28
	global_load_b64 v[61:62], v[61:62], off offset:2048
	s_waitcnt vmcnt(0)
	v_and_b32_e32 v62, 0x7fffffff, v62
.LBB16_67:
	s_or_b32 exec_lo, exec_lo, s29
	v_or_b32_e32 v63, 0x1e00, v0
	s_delay_alu instid0(VALU_DEP_1) | instskip(NEXT) | instid1(VALU_DEP_1)
	v_cmp_gt_u32_e64 s28, s31, v63
                                        ; implicit-def: $vgpr63_vgpr64
	s_and_saveexec_b32 s30, s28
	s_cbranch_execz .LBB16_69
; %bb.68:
	v_add_co_u32 v63, s29, 0xf000, v1
	s_delay_alu instid0(VALU_DEP_1)
	v_add_co_ci_u32_e64 v64, s29, 0, v2, s29
	global_load_b64 v[63:64], v[63:64], off
	s_waitcnt vmcnt(0)
	v_and_b32_e32 v64, 0x7fffffff, v64
.LBB16_69:
	s_or_b32 exec_lo, exec_lo, s30
	v_or_b32_e32 v65, 0x1f00, v0
	s_delay_alu instid0(VALU_DEP_1) | instskip(NEXT) | instid1(VALU_DEP_1)
	v_cmp_gt_u32_e64 s29, s31, v65
                                        ; implicit-def: $vgpr65_vgpr66
	s_and_saveexec_b32 s33, s29
	s_cbranch_execz .LBB16_71
; %bb.70:
	v_add_co_u32 v1, s30, 0xf000, v1
	s_delay_alu instid0(VALU_DEP_1)
	v_add_co_ci_u32_e64 v2, s30, 0, v2, s30
	global_load_b64 v[65:66], v[1:2], off offset:2048
	s_waitcnt vmcnt(0)
	v_and_b32_e32 v66, 0x7fffffff, v66
.LBB16_71:
	s_or_b32 exec_lo, exec_lo, s33
	v_add_f64 v[1:2], v[3:4], v[5:6]
	v_add_nc_u32_e32 v6, 1, v67
	s_delay_alu instid0(VALU_DEP_2) | instskip(SKIP_1) | instid1(VALU_DEP_2)
	v_dual_cndmask_b32 v2, v4, v2 :: v_dual_cndmask_b32 v1, v3, v1
	v_cmp_ne_u32_e32 vcc_lo, 31, v67
	v_add_f64 v[3:4], v[1:2], v[7:8]
	v_add_co_ci_u32_e32 v5, vcc_lo, 0, v67, vcc_lo
	s_delay_alu instid0(VALU_DEP_1) | instskip(NEXT) | instid1(VALU_DEP_3)
	v_lshlrev_b32_e32 v5, 2, v5
	v_cndmask_b32_e64 v2, v2, v4, s0
	s_delay_alu instid0(VALU_DEP_4) | instskip(SKIP_1) | instid1(VALU_DEP_1)
	v_cndmask_b32_e64 v1, v1, v3, s0
	s_min_u32 s0, s31, 0x100
	v_add_f64 v[3:4], v[1:2], v[9:10]
	s_delay_alu instid0(VALU_DEP_1) | instskip(NEXT) | instid1(VALU_DEP_2)
	v_cndmask_b32_e64 v2, v2, v4, s1
	v_cndmask_b32_e64 v1, v1, v3, s1
	s_mov_b32 s1, exec_lo
	s_delay_alu instid0(VALU_DEP_1) | instskip(NEXT) | instid1(VALU_DEP_1)
	v_add_f64 v[3:4], v[1:2], v[11:12]
	v_cndmask_b32_e64 v2, v2, v4, s2
	s_delay_alu instid0(VALU_DEP_2) | instskip(NEXT) | instid1(VALU_DEP_1)
	v_cndmask_b32_e64 v1, v1, v3, s2
	v_add_f64 v[3:4], v[1:2], v[13:14]
	s_delay_alu instid0(VALU_DEP_1) | instskip(NEXT) | instid1(VALU_DEP_2)
	v_cndmask_b32_e64 v2, v2, v4, s3
	v_cndmask_b32_e64 v1, v1, v3, s3
	s_delay_alu instid0(VALU_DEP_1) | instskip(NEXT) | instid1(VALU_DEP_1)
	v_add_f64 v[3:4], v[1:2], v[15:16]
	v_cndmask_b32_e64 v2, v2, v4, s4
	s_delay_alu instid0(VALU_DEP_2) | instskip(NEXT) | instid1(VALU_DEP_1)
	v_cndmask_b32_e64 v1, v1, v3, s4
	v_add_f64 v[3:4], v[1:2], v[17:18]
	s_delay_alu instid0(VALU_DEP_1) | instskip(NEXT) | instid1(VALU_DEP_2)
	v_cndmask_b32_e64 v2, v2, v4, s5
	v_cndmask_b32_e64 v1, v1, v3, s5
	;; [unrolled: 9-line block ×14, first 2 shown]
	ds_bpermute_b32 v1, v5, v3
	ds_bpermute_b32 v2, v5, v4
	v_and_b32_e32 v5, 0xe0, v0
	s_delay_alu instid0(VALU_DEP_1) | instskip(NEXT) | instid1(VALU_DEP_1)
	v_sub_nc_u32_e64 v5, s0, v5 clamp
	v_cmpx_lt_u32_e64 v6, v5
	s_cbranch_execz .LBB16_73
; %bb.72:
	s_waitcnt lgkmcnt(0)
	v_add_f64 v[3:4], v[3:4], v[1:2]
.LBB16_73:
	s_or_b32 exec_lo, exec_lo, s1
	v_cmp_gt_u32_e32 vcc_lo, 30, v67
	v_add_nc_u32_e32 v6, 2, v67
	s_mov_b32 s1, exec_lo
	s_waitcnt lgkmcnt(1)
	v_cndmask_b32_e64 v1, 0, 1, vcc_lo
	s_delay_alu instid0(VALU_DEP_1) | instskip(SKIP_1) | instid1(VALU_DEP_1)
	v_lshlrev_b32_e32 v1, 1, v1
	s_waitcnt lgkmcnt(0)
	v_add_lshl_u32 v2, v1, v67, 2
	ds_bpermute_b32 v1, v2, v3
	ds_bpermute_b32 v2, v2, v4
	v_cmpx_lt_u32_e64 v6, v5
	s_cbranch_execz .LBB16_75
; %bb.74:
	s_waitcnt lgkmcnt(0)
	v_add_f64 v[3:4], v[3:4], v[1:2]
.LBB16_75:
	s_or_b32 exec_lo, exec_lo, s1
	v_cmp_gt_u32_e32 vcc_lo, 28, v67
	v_add_nc_u32_e32 v6, 4, v67
	s_mov_b32 s1, exec_lo
	s_waitcnt lgkmcnt(1)
	v_cndmask_b32_e64 v1, 0, 1, vcc_lo
	s_delay_alu instid0(VALU_DEP_1) | instskip(SKIP_1) | instid1(VALU_DEP_1)
	v_lshlrev_b32_e32 v1, 2, v1
	s_waitcnt lgkmcnt(0)
	v_add_lshl_u32 v2, v1, v67, 2
	ds_bpermute_b32 v1, v2, v3
	ds_bpermute_b32 v2, v2, v4
	;; [unrolled: 18-line block ×4, first 2 shown]
	v_cmpx_lt_u32_e64 v6, v5
	s_cbranch_execz .LBB16_81
; %bb.80:
	s_waitcnt lgkmcnt(0)
	v_add_f64 v[3:4], v[3:4], v[1:2]
.LBB16_81:
	s_or_b32 exec_lo, exec_lo, s1
	s_delay_alu instid0(SALU_CYCLE_1)
	s_mov_b32 s1, exec_lo
	v_cmpx_eq_u32_e32 0, v67
	s_cbranch_execz .LBB16_83
; %bb.82:
	s_waitcnt lgkmcnt(1)
	v_lshrrev_b32_e32 v1, 2, v0
	s_delay_alu instid0(VALU_DEP_1)
	v_and_b32_e32 v1, 56, v1
	ds_store_b64 v1, v[3:4] offset:64
.LBB16_83:
	s_or_b32 exec_lo, exec_lo, s1
	s_delay_alu instid0(SALU_CYCLE_1)
	s_mov_b32 s1, exec_lo
	s_waitcnt lgkmcnt(0)
	s_barrier
	buffer_gl0_inv
	v_cmpx_gt_u32_e32 8, v0
	s_cbranch_execz .LBB16_91
; %bb.84:
	v_lshlrev_b32_e32 v1, 3, v67
	v_and_b32_e32 v5, 7, v67
	s_add_i32 s0, s0, 31
	s_mov_b32 s2, exec_lo
	s_lshr_b32 s0, s0, 5
	ds_load_b64 v[3:4], v1 offset:64
	v_cmp_ne_u32_e32 vcc_lo, 7, v5
	v_add_nc_u32_e32 v6, 1, v5
	v_add_co_ci_u32_e32 v1, vcc_lo, 0, v67, vcc_lo
	s_delay_alu instid0(VALU_DEP_1)
	v_lshlrev_b32_e32 v2, 2, v1
	s_waitcnt lgkmcnt(0)
	ds_bpermute_b32 v1, v2, v3
	ds_bpermute_b32 v2, v2, v4
	v_cmpx_gt_u32_e64 s0, v6
	s_cbranch_execz .LBB16_86
; %bb.85:
	s_waitcnt lgkmcnt(0)
	v_add_f64 v[3:4], v[3:4], v[1:2]
.LBB16_86:
	s_or_b32 exec_lo, exec_lo, s2
	v_cmp_gt_u32_e32 vcc_lo, 6, v5
	v_add_nc_u32_e32 v6, 2, v5
	s_mov_b32 s2, exec_lo
	s_waitcnt lgkmcnt(1)
	v_cndmask_b32_e64 v1, 0, 1, vcc_lo
	s_delay_alu instid0(VALU_DEP_1) | instskip(SKIP_1) | instid1(VALU_DEP_1)
	v_lshlrev_b32_e32 v1, 1, v1
	s_waitcnt lgkmcnt(0)
	v_add_lshl_u32 v2, v1, v67, 2
	ds_bpermute_b32 v1, v2, v3
	ds_bpermute_b32 v2, v2, v4
	v_cmpx_gt_u32_e64 s0, v6
	s_cbranch_execz .LBB16_88
; %bb.87:
	s_waitcnt lgkmcnt(0)
	v_add_f64 v[3:4], v[3:4], v[1:2]
.LBB16_88:
	s_or_b32 exec_lo, exec_lo, s2
	v_cmp_gt_u32_e32 vcc_lo, 4, v5
	v_add_nc_u32_e32 v5, 4, v5
	s_waitcnt lgkmcnt(1)
	v_cndmask_b32_e64 v1, 0, 1, vcc_lo
	s_delay_alu instid0(VALU_DEP_2) | instskip(NEXT) | instid1(VALU_DEP_2)
	v_cmp_gt_u32_e32 vcc_lo, s0, v5
	v_lshlrev_b32_e32 v1, 2, v1
	s_waitcnt lgkmcnt(0)
	s_delay_alu instid0(VALU_DEP_1)
	v_add_lshl_u32 v2, v1, v67, 2
	ds_bpermute_b32 v1, v2, v3
	ds_bpermute_b32 v2, v2, v4
	s_and_saveexec_b32 s0, vcc_lo
	s_cbranch_execz .LBB16_90
; %bb.89:
	s_waitcnt lgkmcnt(0)
	v_add_f64 v[3:4], v[3:4], v[1:2]
.LBB16_90:
	s_or_b32 exec_lo, exec_lo, s0
.LBB16_91:
	s_delay_alu instid0(SALU_CYCLE_1)
	s_or_b32 exec_lo, exec_lo, s1
.LBB16_92:
	s_delay_alu instid0(SALU_CYCLE_1)
	s_mov_b32 s0, exec_lo
	v_cmpx_eq_u32_e32 0, v0
	s_cbranch_execz .LBB16_94
; %bb.93:
	s_waitcnt lgkmcnt(1)
	s_delay_alu instid0(VALU_DEP_2)
	v_add_f64 v[0:1], v[3:4], s[34:35]
	s_lshl_b64 s[0:1], s[40:41], 3
	s_waitcnt lgkmcnt(0)
	v_mov_b32_e32 v2, 0
	s_add_u32 s0, s38, s0
	s_addc_u32 s1, s39, s1
	s_cmp_eq_u64 s[36:37], 0
	s_cselect_b32 s2, -1, 0
	s_delay_alu instid0(VALU_DEP_2) | instid1(SALU_CYCLE_1)
	v_cndmask_b32_e64 v1, v1, s35, s2
	s_delay_alu instid0(VALU_DEP_3)
	v_cndmask_b32_e64 v0, v0, s34, s2
	global_store_b64 v2, v[0:1], s[0:1]
.LBB16_94:
	s_nop 0
	s_sendmsg sendmsg(MSG_DEALLOC_VGPRS)
	s_endpgm
	.section	.rodata,"a",@progbits
	.p2align	6, 0x0
	.amdhsa_kernel _ZN7rocprim6detail19block_reduce_kernelILb1ELb1ELj8ENS0_21wrapped_reduce_configINS_14default_configEdEEdN6thrust11hip_rocprim26transform_input_iterator_tIdNS5_6detail15normal_iteratorINS5_10device_ptrIdEEEEZ4mainEUldE_EEPddNS5_4plusIdEEEEvT4_mT5_T6_T7_
		.amdhsa_group_segment_fixed_size 128
		.amdhsa_private_segment_fixed_size 0
		.amdhsa_kernarg_size 44
		.amdhsa_user_sgpr_count 15
		.amdhsa_user_sgpr_dispatch_ptr 0
		.amdhsa_user_sgpr_queue_ptr 0
		.amdhsa_user_sgpr_kernarg_segment_ptr 1
		.amdhsa_user_sgpr_dispatch_id 0
		.amdhsa_user_sgpr_private_segment_size 0
		.amdhsa_wavefront_size32 1
		.amdhsa_uses_dynamic_stack 0
		.amdhsa_enable_private_segment 0
		.amdhsa_system_sgpr_workgroup_id_x 1
		.amdhsa_system_sgpr_workgroup_id_y 0
		.amdhsa_system_sgpr_workgroup_id_z 0
		.amdhsa_system_sgpr_workgroup_info 0
		.amdhsa_system_vgpr_workitem_id 0
		.amdhsa_next_free_vgpr 68
		.amdhsa_next_free_sgpr 42
		.amdhsa_reserve_vcc 1
		.amdhsa_float_round_mode_32 0
		.amdhsa_float_round_mode_16_64 0
		.amdhsa_float_denorm_mode_32 3
		.amdhsa_float_denorm_mode_16_64 3
		.amdhsa_dx10_clamp 1
		.amdhsa_ieee_mode 1
		.amdhsa_fp16_overflow 0
		.amdhsa_workgroup_processor_mode 1
		.amdhsa_memory_ordered 1
		.amdhsa_forward_progress 0
		.amdhsa_shared_vgpr_count 0
		.amdhsa_exception_fp_ieee_invalid_op 0
		.amdhsa_exception_fp_denorm_src 0
		.amdhsa_exception_fp_ieee_div_zero 0
		.amdhsa_exception_fp_ieee_overflow 0
		.amdhsa_exception_fp_ieee_underflow 0
		.amdhsa_exception_fp_ieee_inexact 0
		.amdhsa_exception_int_div_zero 0
	.end_amdhsa_kernel
	.section	.text._ZN7rocprim6detail19block_reduce_kernelILb1ELb1ELj8ENS0_21wrapped_reduce_configINS_14default_configEdEEdN6thrust11hip_rocprim26transform_input_iterator_tIdNS5_6detail15normal_iteratorINS5_10device_ptrIdEEEEZ4mainEUldE_EEPddNS5_4plusIdEEEEvT4_mT5_T6_T7_,"axG",@progbits,_ZN7rocprim6detail19block_reduce_kernelILb1ELb1ELj8ENS0_21wrapped_reduce_configINS_14default_configEdEEdN6thrust11hip_rocprim26transform_input_iterator_tIdNS5_6detail15normal_iteratorINS5_10device_ptrIdEEEEZ4mainEUldE_EEPddNS5_4plusIdEEEEvT4_mT5_T6_T7_,comdat
.Lfunc_end16:
	.size	_ZN7rocprim6detail19block_reduce_kernelILb1ELb1ELj8ENS0_21wrapped_reduce_configINS_14default_configEdEEdN6thrust11hip_rocprim26transform_input_iterator_tIdNS5_6detail15normal_iteratorINS5_10device_ptrIdEEEEZ4mainEUldE_EEPddNS5_4plusIdEEEEvT4_mT5_T6_T7_, .Lfunc_end16-_ZN7rocprim6detail19block_reduce_kernelILb1ELb1ELj8ENS0_21wrapped_reduce_configINS_14default_configEdEEdN6thrust11hip_rocprim26transform_input_iterator_tIdNS5_6detail15normal_iteratorINS5_10device_ptrIdEEEEZ4mainEUldE_EEPddNS5_4plusIdEEEEvT4_mT5_T6_T7_
                                        ; -- End function
	.section	.AMDGPU.csdata,"",@progbits
; Kernel info:
; codeLenInByte = 5728
; NumSgprs: 44
; NumVgprs: 68
; ScratchSize: 0
; MemoryBound: 1
; FloatMode: 240
; IeeeMode: 1
; LDSByteSize: 128 bytes/workgroup (compile time only)
; SGPRBlocks: 5
; VGPRBlocks: 8
; NumSGPRsForWavesPerEU: 44
; NumVGPRsForWavesPerEU: 68
; Occupancy: 16
; WaveLimiterHint : 1
; COMPUTE_PGM_RSRC2:SCRATCH_EN: 0
; COMPUTE_PGM_RSRC2:USER_SGPR: 15
; COMPUTE_PGM_RSRC2:TRAP_HANDLER: 0
; COMPUTE_PGM_RSRC2:TGID_X_EN: 1
; COMPUTE_PGM_RSRC2:TGID_Y_EN: 0
; COMPUTE_PGM_RSRC2:TGID_Z_EN: 0
; COMPUTE_PGM_RSRC2:TIDIG_COMP_CNT: 0
	.section	.text._ZN7rocprim6detail19block_reduce_kernelILb1ELb1ELj16ENS0_21wrapped_reduce_configINS_14default_configEdEEdN6thrust11hip_rocprim26transform_input_iterator_tIdNS5_6detail15normal_iteratorINS5_10device_ptrIdEEEEZ4mainEUldE_EEPddNS5_4plusIdEEEEvT4_mT5_T6_T7_,"axG",@progbits,_ZN7rocprim6detail19block_reduce_kernelILb1ELb1ELj16ENS0_21wrapped_reduce_configINS_14default_configEdEEdN6thrust11hip_rocprim26transform_input_iterator_tIdNS5_6detail15normal_iteratorINS5_10device_ptrIdEEEEZ4mainEUldE_EEPddNS5_4plusIdEEEEvT4_mT5_T6_T7_,comdat
	.globl	_ZN7rocprim6detail19block_reduce_kernelILb1ELb1ELj16ENS0_21wrapped_reduce_configINS_14default_configEdEEdN6thrust11hip_rocprim26transform_input_iterator_tIdNS5_6detail15normal_iteratorINS5_10device_ptrIdEEEEZ4mainEUldE_EEPddNS5_4plusIdEEEEvT4_mT5_T6_T7_ ; -- Begin function _ZN7rocprim6detail19block_reduce_kernelILb1ELb1ELj16ENS0_21wrapped_reduce_configINS_14default_configEdEEdN6thrust11hip_rocprim26transform_input_iterator_tIdNS5_6detail15normal_iteratorINS5_10device_ptrIdEEEEZ4mainEUldE_EEPddNS5_4plusIdEEEEvT4_mT5_T6_T7_
	.p2align	8
	.type	_ZN7rocprim6detail19block_reduce_kernelILb1ELb1ELj16ENS0_21wrapped_reduce_configINS_14default_configEdEEdN6thrust11hip_rocprim26transform_input_iterator_tIdNS5_6detail15normal_iteratorINS5_10device_ptrIdEEEEZ4mainEUldE_EEPddNS5_4plusIdEEEEvT4_mT5_T6_T7_,@function
_ZN7rocprim6detail19block_reduce_kernelILb1ELb1ELj16ENS0_21wrapped_reduce_configINS_14default_configEdEEdN6thrust11hip_rocprim26transform_input_iterator_tIdNS5_6detail15normal_iteratorINS5_10device_ptrIdEEEEZ4mainEUldE_EEPddNS5_4plusIdEEEEvT4_mT5_T6_T7_: ; @_ZN7rocprim6detail19block_reduce_kernelILb1ELb1ELj16ENS0_21wrapped_reduce_configINS_14default_configEdEEdN6thrust11hip_rocprim26transform_input_iterator_tIdNS5_6detail15normal_iteratorINS5_10device_ptrIdEEEEZ4mainEUldE_EEPddNS5_4plusIdEEEEvT4_mT5_T6_T7_
; %bb.0:
	s_clause 0x2
	s_load_b128 s[64:67], s[0:1], 0x10
	s_load_b64 s[2:3], s[0:1], 0x0
	s_load_b64 s[68:69], s[0:1], 0x20
	s_mov_b32 s1, 0
	s_lshl_b32 s0, s15, 14
	v_lshlrev_b32_e32 v1, 3, v0
	s_lshl_b64 s[4:5], s[0:1], 3
	s_mov_b32 s71, s1
	v_mbcnt_lo_u32_b32 v131, -1, 0
	s_mov_b32 s70, s15
	s_waitcnt lgkmcnt(0)
	s_lshr_b64 s[6:7], s[64:65], 14
	s_add_u32 s1, s2, s4
	s_addc_u32 s2, s3, s5
	v_add_co_u32 v1, s1, s1, v1
	s_delay_alu instid0(VALU_DEP_1)
	v_add_co_ci_u32_e64 v2, null, s2, 0, s1
	s_cmp_lg_u64 s[6:7], s[70:71]
	s_cbranch_scc0 .LBB17_6
; %bb.1:
	s_clause 0x1
	global_load_b64 v[3:4], v[1:2], off
	global_load_b64 v[5:6], v[1:2], off offset:2048
	v_add_co_u32 v7, vcc_lo, v1, 0x2000
	v_add_co_ci_u32_e32 v8, vcc_lo, 0, v2, vcc_lo
	v_add_co_u32 v11, vcc_lo, 0x1000, v1
	v_add_co_ci_u32_e32 v12, vcc_lo, 0, v2, vcc_lo
	s_clause 0x2
	global_load_b64 v[9:10], v[7:8], off offset:-4096
	global_load_b64 v[11:12], v[11:12], off offset:2048
	global_load_b64 v[7:8], v[7:8], off
	v_add_co_u32 v13, vcc_lo, 0x2000, v1
	v_add_co_ci_u32_e32 v14, vcc_lo, 0, v2, vcc_lo
	v_add_co_u32 v15, vcc_lo, v1, 0x4000
	v_add_co_ci_u32_e32 v16, vcc_lo, 0, v2, vcc_lo
	global_load_b64 v[13:14], v[13:14], off offset:2048
	v_add_co_u32 v19, vcc_lo, 0x3000, v1
	global_load_b64 v[17:18], v[15:16], off offset:-4096
	v_add_co_ci_u32_e32 v20, vcc_lo, 0, v2, vcc_lo
	s_clause 0x1
	global_load_b64 v[19:20], v[19:20], off offset:2048
	global_load_b64 v[15:16], v[15:16], off
	v_add_co_u32 v21, vcc_lo, 0x4000, v1
	v_add_co_ci_u32_e32 v22, vcc_lo, 0, v2, vcc_lo
	s_mov_b32 s1, exec_lo
	global_load_b64 v[21:22], v[21:22], off offset:2048
	s_waitcnt vmcnt(8)
	v_add_f64 v[3:4], |v[3:4]|, |v[5:6]|
	v_add_co_u32 v5, vcc_lo, v1, 0x6000
	v_add_co_ci_u32_e32 v6, vcc_lo, 0, v2, vcc_lo
	v_add_co_u32 v25, vcc_lo, 0x1f000, v1
	v_add_co_ci_u32_e32 v26, vcc_lo, 0, v2, vcc_lo
	s_clause 0x1
	global_load_b64 v[23:24], v[5:6], off offset:-4096
	global_load_b64 v[27:28], v[25:26], off offset:2048
	s_waitcnt vmcnt(9)
	v_add_f64 v[3:4], v[3:4], |v[9:10]|
	v_add_co_u32 v9, vcc_lo, 0x5000, v1
	v_add_co_ci_u32_e32 v10, vcc_lo, 0, v2, vcc_lo
	global_load_b64 v[9:10], v[9:10], off offset:2048
	s_waitcnt vmcnt(9)
	v_add_f64 v[3:4], v[3:4], |v[11:12]|
	s_waitcnt vmcnt(8)
	s_delay_alu instid0(VALU_DEP_1)
	v_add_f64 v[3:4], v[3:4], |v[7:8]|
	v_add_co_u32 v7, vcc_lo, 0x6000, v1
	v_add_co_ci_u32_e32 v8, vcc_lo, 0, v2, vcc_lo
	v_add_co_u32 v11, vcc_lo, v1, 0x8000
	v_add_co_ci_u32_e32 v12, vcc_lo, 0, v2, vcc_lo
	global_load_b64 v[7:8], v[7:8], off offset:2048
	s_waitcnt vmcnt(8)
	v_add_f64 v[3:4], v[3:4], |v[13:14]|
	global_load_b64 v[13:14], v[11:12], off offset:-4096
	s_waitcnt vmcnt(8)
	v_add_f64 v[3:4], v[3:4], |v[17:18]|
	v_add_co_u32 v17, vcc_lo, 0x7000, v1
	v_add_co_ci_u32_e32 v18, vcc_lo, 0, v2, vcc_lo
	global_load_b64 v[17:18], v[17:18], off offset:2048
	s_waitcnt vmcnt(8)
	v_add_f64 v[3:4], v[3:4], |v[19:20]|
	s_waitcnt vmcnt(7)
	s_delay_alu instid0(VALU_DEP_1)
	v_add_f64 v[3:4], v[3:4], |v[15:16]|
	v_add_co_u32 v15, vcc_lo, 0x8000, v1
	v_add_co_ci_u32_e32 v16, vcc_lo, 0, v2, vcc_lo
	v_add_co_u32 v19, vcc_lo, v1, 0xa000
	v_add_co_ci_u32_e32 v20, vcc_lo, 0, v2, vcc_lo
	s_clause 0x1
	global_load_b64 v[15:16], v[15:16], off offset:2048
	global_load_b64 v[5:6], v[5:6], off
	s_waitcnt vmcnt(8)
	v_add_f64 v[3:4], v[3:4], |v[21:22]|
	global_load_b64 v[21:22], v[19:20], off offset:-4096
	s_waitcnt vmcnt(8)
	v_add_f64 v[3:4], v[3:4], |v[23:24]|
	v_add_co_u32 v23, vcc_lo, 0x9000, v1
	v_add_co_ci_u32_e32 v24, vcc_lo, 0, v2, vcc_lo
	global_load_b64 v[23:24], v[23:24], off offset:2048
	s_waitcnt vmcnt(7)
	v_add_f64 v[3:4], v[3:4], |v[9:10]|
	global_load_b64 v[9:10], v[19:20], off
	s_waitcnt vmcnt(3)
	v_add_f64 v[3:4], v[3:4], |v[5:6]|
	v_add_co_u32 v5, vcc_lo, 0xa000, v1
	v_add_co_ci_u32_e32 v6, vcc_lo, 0, v2, vcc_lo
	global_load_b64 v[5:6], v[5:6], off offset:2048
	v_add_f64 v[3:4], v[3:4], |v[7:8]|
	v_add_co_u32 v7, vcc_lo, v1, 0xc000
	v_add_co_ci_u32_e32 v8, vcc_lo, 0, v2, vcc_lo
	s_clause 0x1
	global_load_b64 v[19:20], v[7:8], off offset:-4096
	global_load_b64 v[11:12], v[11:12], off
	v_add_f64 v[3:4], v[3:4], |v[13:14]|
	v_add_co_u32 v13, vcc_lo, 0xb000, v1
	v_add_co_ci_u32_e32 v14, vcc_lo, 0, v2, vcc_lo
	global_load_b64 v[13:14], v[13:14], off offset:2048
	v_add_f64 v[3:4], v[3:4], |v[17:18]|
	s_waitcnt vmcnt(1)
	s_delay_alu instid0(VALU_DEP_1)
	v_add_f64 v[3:4], v[3:4], |v[11:12]|
	v_add_co_u32 v11, vcc_lo, 0xc000, v1
	v_add_co_ci_u32_e32 v12, vcc_lo, 0, v2, vcc_lo
	global_load_b64 v[11:12], v[11:12], off offset:2048
	v_add_f64 v[3:4], v[3:4], |v[15:16]|
	v_add_co_u32 v15, vcc_lo, v1, 0xe000
	v_add_co_ci_u32_e32 v16, vcc_lo, 0, v2, vcc_lo
	global_load_b64 v[17:18], v[15:16], off offset:-4096
	v_add_f64 v[3:4], v[3:4], |v[21:22]|
	v_add_co_u32 v21, vcc_lo, 0xd000, v1
	v_add_co_ci_u32_e32 v22, vcc_lo, 0, v2, vcc_lo
	global_load_b64 v[21:22], v[21:22], off offset:2048
	v_add_f64 v[3:4], v[3:4], |v[23:24]|
	s_delay_alu instid0(VALU_DEP_1)
	v_add_f64 v[3:4], v[3:4], |v[9:10]|
	v_add_co_u32 v9, vcc_lo, 0xe000, v1
	v_add_co_ci_u32_e32 v10, vcc_lo, 0, v2, vcc_lo
	global_load_b64 v[9:10], v[9:10], off offset:2048
	v_add_f64 v[3:4], v[3:4], |v[5:6]|
	v_add_co_u32 v5, vcc_lo, v1, 0x10000
	v_add_co_ci_u32_e32 v6, vcc_lo, 0, v2, vcc_lo
	s_clause 0x1
	global_load_b64 v[23:24], v[5:6], off offset:-4096
	global_load_b64 v[7:8], v[7:8], off
	v_add_f64 v[3:4], v[3:4], |v[19:20]|
	v_add_co_u32 v19, vcc_lo, 0xf000, v1
	v_add_co_ci_u32_e32 v20, vcc_lo, 0, v2, vcc_lo
	s_clause 0x1
	global_load_b64 v[19:20], v[19:20], off offset:2048
	global_load_b64 v[5:6], v[5:6], off
	s_waitcnt vmcnt(8)
	v_add_f64 v[3:4], v[3:4], |v[13:14]|
	s_waitcnt vmcnt(2)
	s_delay_alu instid0(VALU_DEP_1)
	v_add_f64 v[3:4], v[3:4], |v[7:8]|
	v_add_co_u32 v7, vcc_lo, 0x10000, v1
	v_add_co_ci_u32_e32 v8, vcc_lo, 0, v2, vcc_lo
	global_load_b64 v[7:8], v[7:8], off offset:2048
	v_add_f64 v[3:4], v[3:4], |v[11:12]|
	v_add_co_u32 v11, vcc_lo, v1, 0x12000
	v_add_co_ci_u32_e32 v12, vcc_lo, 0, v2, vcc_lo
	s_clause 0x2
	global_load_b64 v[13:14], v[11:12], off offset:-4096
	global_load_b64 v[15:16], v[15:16], off
	global_load_b64 v[11:12], v[11:12], off
	v_add_f64 v[3:4], v[3:4], |v[17:18]|
	v_add_co_u32 v17, vcc_lo, 0x11000, v1
	v_add_co_ci_u32_e32 v18, vcc_lo, 0, v2, vcc_lo
	global_load_b64 v[17:18], v[17:18], off offset:2048
	v_add_f64 v[3:4], v[3:4], |v[21:22]|
	s_waitcnt vmcnt(2)
	s_delay_alu instid0(VALU_DEP_1)
	v_add_f64 v[3:4], v[3:4], |v[15:16]|
	v_add_co_u32 v15, vcc_lo, 0x12000, v1
	v_add_co_ci_u32_e32 v16, vcc_lo, 0, v2, vcc_lo
	global_load_b64 v[15:16], v[15:16], off offset:2048
	v_add_f64 v[3:4], v[3:4], |v[9:10]|
	v_add_co_u32 v9, vcc_lo, v1, 0x14000
	v_add_co_ci_u32_e32 v10, vcc_lo, 0, v2, vcc_lo
	global_load_b64 v[21:22], v[9:10], off offset:-4096
	v_add_f64 v[3:4], v[3:4], |v[23:24]|
	v_add_co_u32 v23, vcc_lo, 0x13000, v1
	v_add_co_ci_u32_e32 v24, vcc_lo, 0, v2, vcc_lo
	global_load_b64 v[23:24], v[23:24], off offset:2048
	v_add_f64 v[3:4], v[3:4], |v[19:20]|
	s_delay_alu instid0(VALU_DEP_1)
	v_add_f64 v[3:4], v[3:4], |v[5:6]|
	v_add_co_u32 v5, vcc_lo, 0x14000, v1
	v_add_co_ci_u32_e32 v6, vcc_lo, 0, v2, vcc_lo
	global_load_b64 v[5:6], v[5:6], off offset:2048
	v_add_f64 v[3:4], v[3:4], |v[7:8]|
	v_add_co_u32 v7, vcc_lo, v1, 0x16000
	v_add_co_ci_u32_e32 v8, vcc_lo, 0, v2, vcc_lo
	s_clause 0x1
	global_load_b64 v[19:20], v[7:8], off offset:-4096
	global_load_b64 v[9:10], v[9:10], off
	v_add_f64 v[3:4], v[3:4], |v[13:14]|
	v_add_co_u32 v13, vcc_lo, 0x15000, v1
	v_add_co_ci_u32_e32 v14, vcc_lo, 0, v2, vcc_lo
	global_load_b64 v[13:14], v[13:14], off offset:2048
	s_waitcnt vmcnt(7)
	v_add_f64 v[3:4], v[3:4], |v[17:18]|
	s_delay_alu instid0(VALU_DEP_1)
	v_add_f64 v[3:4], v[3:4], |v[11:12]|
	v_add_co_u32 v11, vcc_lo, 0x16000, v1
	v_add_co_ci_u32_e32 v12, vcc_lo, 0, v2, vcc_lo
	global_load_b64 v[11:12], v[11:12], off offset:2048
	s_waitcnt vmcnt(7)
	v_add_f64 v[3:4], v[3:4], |v[15:16]|
	v_add_co_u32 v15, vcc_lo, v1, 0x18000
	v_add_co_ci_u32_e32 v16, vcc_lo, 0, v2, vcc_lo
	global_load_b64 v[17:18], v[15:16], off offset:-4096
	s_waitcnt vmcnt(7)
	v_add_f64 v[3:4], v[3:4], |v[21:22]|
	v_add_co_u32 v21, vcc_lo, 0x17000, v1
	v_add_co_ci_u32_e32 v22, vcc_lo, 0, v2, vcc_lo
	s_clause 0x1
	global_load_b64 v[21:22], v[21:22], off offset:2048
	global_load_b64 v[15:16], v[15:16], off
	s_waitcnt vmcnt(8)
	v_add_f64 v[3:4], v[3:4], |v[23:24]|
	s_waitcnt vmcnt(5)
	s_delay_alu instid0(VALU_DEP_1)
	v_add_f64 v[3:4], v[3:4], |v[9:10]|
	v_add_co_u32 v9, vcc_lo, 0x18000, v1
	v_add_co_ci_u32_e32 v10, vcc_lo, 0, v2, vcc_lo
	global_load_b64 v[9:10], v[9:10], off offset:2048
	v_add_f64 v[3:4], v[3:4], |v[5:6]|
	v_add_co_u32 v5, vcc_lo, v1, 0x1a000
	v_add_co_ci_u32_e32 v6, vcc_lo, 0, v2, vcc_lo
	s_clause 0x2
	global_load_b64 v[23:24], v[5:6], off offset:-4096
	global_load_b64 v[7:8], v[7:8], off
	global_load_b64 v[5:6], v[5:6], off
	v_add_f64 v[3:4], v[3:4], |v[19:20]|
	v_add_co_u32 v19, vcc_lo, 0x19000, v1
	v_add_co_ci_u32_e32 v20, vcc_lo, 0, v2, vcc_lo
	global_load_b64 v[19:20], v[19:20], off offset:2048
	s_waitcnt vmcnt(9)
	v_add_f64 v[3:4], v[3:4], |v[13:14]|
	s_waitcnt vmcnt(2)
	s_delay_alu instid0(VALU_DEP_1)
	v_add_f64 v[3:4], v[3:4], |v[7:8]|
	v_add_co_u32 v7, vcc_lo, 0x1a000, v1
	v_add_co_ci_u32_e32 v8, vcc_lo, 0, v2, vcc_lo
	global_load_b64 v[7:8], v[7:8], off offset:2048
	v_add_f64 v[3:4], v[3:4], |v[11:12]|
	v_add_co_u32 v11, vcc_lo, v1, 0x1c000
	v_add_co_ci_u32_e32 v12, vcc_lo, 0, v2, vcc_lo
	global_load_b64 v[13:14], v[11:12], off offset:-4096
	v_add_f64 v[3:4], v[3:4], |v[17:18]|
	v_add_co_u32 v17, vcc_lo, 0x1b000, v1
	v_add_co_ci_u32_e32 v18, vcc_lo, 0, v2, vcc_lo
	global_load_b64 v[17:18], v[17:18], off offset:2048
	v_add_f64 v[3:4], v[3:4], |v[21:22]|
	s_delay_alu instid0(VALU_DEP_1)
	v_add_f64 v[3:4], v[3:4], |v[15:16]|
	v_add_co_u32 v15, vcc_lo, 0x1c000, v1
	v_add_co_ci_u32_e32 v16, vcc_lo, 0, v2, vcc_lo
	global_load_b64 v[15:16], v[15:16], off offset:2048
	v_add_f64 v[3:4], v[3:4], |v[9:10]|
	v_add_co_u32 v9, vcc_lo, v1, 0x1e000
	v_add_co_ci_u32_e32 v10, vcc_lo, 0, v2, vcc_lo
	s_clause 0x2
	global_load_b64 v[21:22], v[9:10], off offset:-4096
	global_load_b64 v[11:12], v[11:12], off
	global_load_b64 v[9:10], v[9:10], off
	v_add_f64 v[3:4], v[3:4], |v[23:24]|
	v_add_co_u32 v23, vcc_lo, 0x1d000, v1
	v_add_co_ci_u32_e32 v24, vcc_lo, 0, v2, vcc_lo
	global_load_b64 v[23:24], v[23:24], off offset:2048
	s_waitcnt vmcnt(8)
	v_add_f64 v[3:4], v[3:4], |v[19:20]|
	s_delay_alu instid0(VALU_DEP_1)
	v_add_f64 v[3:4], v[3:4], |v[5:6]|
	v_add_co_u32 v5, vcc_lo, 0x1e000, v1
	v_add_co_ci_u32_e32 v6, vcc_lo, 0, v2, vcc_lo
	global_load_b64 v[5:6], v[5:6], off offset:2048
	s_waitcnt vmcnt(8)
	v_add_f64 v[3:4], v[3:4], |v[7:8]|
	global_load_b64 v[7:8], v[25:26], off
	s_waitcnt vmcnt(8)
	v_add_f64 v[3:4], v[3:4], |v[13:14]|
	s_waitcnt vmcnt(7)
	s_delay_alu instid0(VALU_DEP_1) | instskip(SKIP_1) | instid1(VALU_DEP_1)
	v_add_f64 v[3:4], v[3:4], |v[17:18]|
	s_waitcnt vmcnt(4)
	v_add_f64 v[3:4], v[3:4], |v[11:12]|
	s_delay_alu instid0(VALU_DEP_1) | instskip(NEXT) | instid1(VALU_DEP_1)
	v_add_f64 v[3:4], v[3:4], |v[15:16]|
	v_add_f64 v[3:4], v[3:4], |v[21:22]|
	s_waitcnt vmcnt(2)
	s_delay_alu instid0(VALU_DEP_1) | instskip(NEXT) | instid1(VALU_DEP_1)
	v_add_f64 v[3:4], v[3:4], |v[23:24]|
	v_add_f64 v[3:4], v[3:4], |v[9:10]|
	s_waitcnt vmcnt(1)
	s_delay_alu instid0(VALU_DEP_1) | instskip(SKIP_1) | instid1(VALU_DEP_1)
	v_add_f64 v[3:4], v[3:4], |v[5:6]|
	s_waitcnt vmcnt(0)
	v_add_f64 v[3:4], v[3:4], |v[7:8]|
	s_delay_alu instid0(VALU_DEP_1) | instskip(NEXT) | instid1(VALU_DEP_1)
	v_add_f64 v[3:4], v[3:4], |v[27:28]|
	v_mov_b32_dpp v5, v3 quad_perm:[1,0,3,2] row_mask:0xf bank_mask:0xf
	s_delay_alu instid0(VALU_DEP_2) | instskip(NEXT) | instid1(VALU_DEP_1)
	v_mov_b32_dpp v6, v4 quad_perm:[1,0,3,2] row_mask:0xf bank_mask:0xf
	v_add_f64 v[3:4], v[3:4], v[5:6]
	s_delay_alu instid0(VALU_DEP_1) | instskip(NEXT) | instid1(VALU_DEP_2)
	v_mov_b32_dpp v5, v3 quad_perm:[2,3,0,1] row_mask:0xf bank_mask:0xf
	v_mov_b32_dpp v6, v4 quad_perm:[2,3,0,1] row_mask:0xf bank_mask:0xf
	s_delay_alu instid0(VALU_DEP_1) | instskip(NEXT) | instid1(VALU_DEP_1)
	v_add_f64 v[3:4], v[3:4], v[5:6]
	v_mov_b32_dpp v5, v3 row_ror:4 row_mask:0xf bank_mask:0xf
	s_delay_alu instid0(VALU_DEP_2) | instskip(NEXT) | instid1(VALU_DEP_1)
	v_mov_b32_dpp v6, v4 row_ror:4 row_mask:0xf bank_mask:0xf
	v_add_f64 v[3:4], v[3:4], v[5:6]
	s_delay_alu instid0(VALU_DEP_1) | instskip(NEXT) | instid1(VALU_DEP_2)
	v_mov_b32_dpp v5, v3 row_ror:8 row_mask:0xf bank_mask:0xf
	v_mov_b32_dpp v6, v4 row_ror:8 row_mask:0xf bank_mask:0xf
	s_delay_alu instid0(VALU_DEP_1)
	v_add_f64 v[3:4], v[3:4], v[5:6]
	ds_swizzle_b32 v5, v3 offset:swizzle(BROADCAST,32,15)
	ds_swizzle_b32 v6, v4 offset:swizzle(BROADCAST,32,15)
	s_waitcnt lgkmcnt(0)
	v_add_f64 v[3:4], v[3:4], v[5:6]
	v_mov_b32_e32 v5, 0
	ds_bpermute_b32 v3, v5, v3 offset:124
	ds_bpermute_b32 v4, v5, v4 offset:124
	v_cmpx_eq_u32_e32 0, v131
	s_cbranch_execz .LBB17_3
; %bb.2:
	v_lshrrev_b32_e32 v5, 2, v0
	s_delay_alu instid0(VALU_DEP_1)
	v_and_b32_e32 v5, 56, v5
	s_waitcnt lgkmcnt(0)
	ds_store_b64 v5, v[3:4]
.LBB17_3:
	s_or_b32 exec_lo, exec_lo, s1
	s_delay_alu instid0(SALU_CYCLE_1)
	s_mov_b32 s1, exec_lo
	s_waitcnt lgkmcnt(0)
	s_barrier
	buffer_gl0_inv
	v_cmpx_gt_u32_e32 32, v0
	s_cbranch_execz .LBB17_5
; %bb.4:
	v_and_b32_e32 v7, 7, v131
	s_delay_alu instid0(VALU_DEP_1) | instskip(SKIP_4) | instid1(VALU_DEP_2)
	v_lshlrev_b32_e32 v3, 3, v7
	v_cmp_ne_u32_e32 vcc_lo, 7, v7
	ds_load_b64 v[3:4], v3
	v_add_co_ci_u32_e32 v5, vcc_lo, 0, v131, vcc_lo
	v_cmp_gt_u32_e32 vcc_lo, 6, v7
	v_lshlrev_b32_e32 v6, 2, v5
	s_waitcnt lgkmcnt(0)
	ds_bpermute_b32 v5, v6, v3
	ds_bpermute_b32 v6, v6, v4
	s_waitcnt lgkmcnt(0)
	v_add_f64 v[3:4], v[3:4], v[5:6]
	v_cndmask_b32_e64 v5, 0, 1, vcc_lo
	v_cmp_gt_u32_e32 vcc_lo, 4, v7
	s_delay_alu instid0(VALU_DEP_2) | instskip(NEXT) | instid1(VALU_DEP_1)
	v_lshlrev_b32_e32 v5, 1, v5
	v_add_lshl_u32 v6, v5, v131, 2
	ds_bpermute_b32 v5, v6, v3
	ds_bpermute_b32 v6, v6, v4
	s_waitcnt lgkmcnt(0)
	v_add_f64 v[3:4], v[3:4], v[5:6]
	v_cndmask_b32_e64 v5, 0, 1, vcc_lo
	s_delay_alu instid0(VALU_DEP_1) | instskip(NEXT) | instid1(VALU_DEP_1)
	v_lshlrev_b32_e32 v5, 2, v5
	v_add_lshl_u32 v6, v5, v131, 2
	ds_bpermute_b32 v5, v6, v3
	ds_bpermute_b32 v6, v6, v4
	s_waitcnt lgkmcnt(0)
	v_add_f64 v[3:4], v[3:4], v[5:6]
.LBB17_5:
	s_or_b32 exec_lo, exec_lo, s1
	s_branch .LBB17_156
.LBB17_6:
                                        ; implicit-def: $vgpr3_vgpr4
	s_cbranch_execz .LBB17_156
; %bb.7:
	s_sub_i32 s72, s64, s0
	s_mov_b32 s0, exec_lo
                                        ; implicit-def: $vgpr3_vgpr4
	v_cmpx_gt_u32_e64 s72, v0
	s_cbranch_execz .LBB17_9
; %bb.8:
	global_load_b64 v[3:4], v[1:2], off
	s_waitcnt vmcnt(0)
	v_and_b32_e32 v4, 0x7fffffff, v4
.LBB17_9:
	s_or_b32 exec_lo, exec_lo, s0
	v_or_b32_e32 v5, 0x100, v0
	s_delay_alu instid0(VALU_DEP_1)
	v_cmp_gt_u32_e32 vcc_lo, s72, v5
                                        ; implicit-def: $vgpr5_vgpr6
	s_and_saveexec_b32 s0, vcc_lo
	s_cbranch_execz .LBB17_11
; %bb.10:
	global_load_b64 v[5:6], v[1:2], off offset:2048
	s_waitcnt vmcnt(0)
	v_and_b32_e32 v6, 0x7fffffff, v6
.LBB17_11:
	s_or_b32 exec_lo, exec_lo, s0
	v_or_b32_e32 v7, 0x200, v0
	s_delay_alu instid0(VALU_DEP_1) | instskip(NEXT) | instid1(VALU_DEP_1)
	v_cmp_gt_u32_e64 s0, s72, v7
                                        ; implicit-def: $vgpr7_vgpr8
	s_and_saveexec_b32 s2, s0
	s_cbranch_execz .LBB17_13
; %bb.12:
	v_add_co_u32 v7, s1, 0x1000, v1
	s_delay_alu instid0(VALU_DEP_1)
	v_add_co_ci_u32_e64 v8, s1, 0, v2, s1
	global_load_b64 v[7:8], v[7:8], off
	s_waitcnt vmcnt(0)
	v_and_b32_e32 v8, 0x7fffffff, v8
.LBB17_13:
	s_or_b32 exec_lo, exec_lo, s2
	v_or_b32_e32 v9, 0x300, v0
	s_delay_alu instid0(VALU_DEP_1) | instskip(NEXT) | instid1(VALU_DEP_1)
	v_cmp_gt_u32_e64 s1, s72, v9
                                        ; implicit-def: $vgpr9_vgpr10
	s_and_saveexec_b32 s3, s1
	s_cbranch_execz .LBB17_15
; %bb.14:
	v_add_co_u32 v9, s2, 0x1000, v1
	s_delay_alu instid0(VALU_DEP_1)
	v_add_co_ci_u32_e64 v10, s2, 0, v2, s2
	global_load_b64 v[9:10], v[9:10], off offset:2048
	s_waitcnt vmcnt(0)
	v_and_b32_e32 v10, 0x7fffffff, v10
.LBB17_15:
	s_or_b32 exec_lo, exec_lo, s3
	v_or_b32_e32 v11, 0x400, v0
	s_delay_alu instid0(VALU_DEP_1) | instskip(NEXT) | instid1(VALU_DEP_1)
	v_cmp_gt_u32_e64 s2, s72, v11
                                        ; implicit-def: $vgpr11_vgpr12
	s_and_saveexec_b32 s4, s2
	s_cbranch_execz .LBB17_17
; %bb.16:
	v_add_co_u32 v11, s3, 0x2000, v1
	s_delay_alu instid0(VALU_DEP_1)
	v_add_co_ci_u32_e64 v12, s3, 0, v2, s3
	global_load_b64 v[11:12], v[11:12], off
	s_waitcnt vmcnt(0)
	v_and_b32_e32 v12, 0x7fffffff, v12
.LBB17_17:
	s_or_b32 exec_lo, exec_lo, s4
	v_or_b32_e32 v13, 0x500, v0
	s_delay_alu instid0(VALU_DEP_1) | instskip(NEXT) | instid1(VALU_DEP_1)
	v_cmp_gt_u32_e64 s3, s72, v13
                                        ; implicit-def: $vgpr13_vgpr14
	s_and_saveexec_b32 s5, s3
	s_cbranch_execz .LBB17_19
; %bb.18:
	v_add_co_u32 v13, s4, 0x2000, v1
	s_delay_alu instid0(VALU_DEP_1)
	v_add_co_ci_u32_e64 v14, s4, 0, v2, s4
	global_load_b64 v[13:14], v[13:14], off offset:2048
	s_waitcnt vmcnt(0)
	v_and_b32_e32 v14, 0x7fffffff, v14
.LBB17_19:
	s_or_b32 exec_lo, exec_lo, s5
	v_or_b32_e32 v15, 0x600, v0
	s_delay_alu instid0(VALU_DEP_1) | instskip(NEXT) | instid1(VALU_DEP_1)
	v_cmp_gt_u32_e64 s4, s72, v15
                                        ; implicit-def: $vgpr15_vgpr16
	s_and_saveexec_b32 s6, s4
	s_cbranch_execz .LBB17_21
; %bb.20:
	v_add_co_u32 v15, s5, 0x3000, v1
	s_delay_alu instid0(VALU_DEP_1)
	v_add_co_ci_u32_e64 v16, s5, 0, v2, s5
	global_load_b64 v[15:16], v[15:16], off
	s_waitcnt vmcnt(0)
	v_and_b32_e32 v16, 0x7fffffff, v16
.LBB17_21:
	s_or_b32 exec_lo, exec_lo, s6
	v_or_b32_e32 v17, 0x700, v0
	s_delay_alu instid0(VALU_DEP_1) | instskip(NEXT) | instid1(VALU_DEP_1)
	v_cmp_gt_u32_e64 s5, s72, v17
                                        ; implicit-def: $vgpr17_vgpr18
	s_and_saveexec_b32 s7, s5
	s_cbranch_execz .LBB17_23
; %bb.22:
	v_add_co_u32 v17, s6, 0x3000, v1
	s_delay_alu instid0(VALU_DEP_1)
	v_add_co_ci_u32_e64 v18, s6, 0, v2, s6
	global_load_b64 v[17:18], v[17:18], off offset:2048
	s_waitcnt vmcnt(0)
	v_and_b32_e32 v18, 0x7fffffff, v18
.LBB17_23:
	s_or_b32 exec_lo, exec_lo, s7
	v_or_b32_e32 v19, 0x800, v0
	s_delay_alu instid0(VALU_DEP_1) | instskip(NEXT) | instid1(VALU_DEP_1)
	v_cmp_gt_u32_e64 s6, s72, v19
                                        ; implicit-def: $vgpr19_vgpr20
	s_and_saveexec_b32 s8, s6
	s_cbranch_execz .LBB17_25
; %bb.24:
	v_add_co_u32 v19, s7, 0x4000, v1
	s_delay_alu instid0(VALU_DEP_1)
	v_add_co_ci_u32_e64 v20, s7, 0, v2, s7
	global_load_b64 v[19:20], v[19:20], off
	s_waitcnt vmcnt(0)
	v_and_b32_e32 v20, 0x7fffffff, v20
.LBB17_25:
	s_or_b32 exec_lo, exec_lo, s8
	v_or_b32_e32 v21, 0x900, v0
	s_delay_alu instid0(VALU_DEP_1) | instskip(NEXT) | instid1(VALU_DEP_1)
	v_cmp_gt_u32_e64 s7, s72, v21
                                        ; implicit-def: $vgpr21_vgpr22
	s_and_saveexec_b32 s9, s7
	s_cbranch_execz .LBB17_27
; %bb.26:
	v_add_co_u32 v21, s8, 0x4000, v1
	s_delay_alu instid0(VALU_DEP_1)
	v_add_co_ci_u32_e64 v22, s8, 0, v2, s8
	global_load_b64 v[21:22], v[21:22], off offset:2048
	s_waitcnt vmcnt(0)
	v_and_b32_e32 v22, 0x7fffffff, v22
.LBB17_27:
	s_or_b32 exec_lo, exec_lo, s9
	v_or_b32_e32 v23, 0xa00, v0
	s_delay_alu instid0(VALU_DEP_1) | instskip(NEXT) | instid1(VALU_DEP_1)
	v_cmp_gt_u32_e64 s8, s72, v23
                                        ; implicit-def: $vgpr23_vgpr24
	s_and_saveexec_b32 s10, s8
	s_cbranch_execz .LBB17_29
; %bb.28:
	v_add_co_u32 v23, s9, 0x5000, v1
	s_delay_alu instid0(VALU_DEP_1)
	v_add_co_ci_u32_e64 v24, s9, 0, v2, s9
	global_load_b64 v[23:24], v[23:24], off
	s_waitcnt vmcnt(0)
	v_and_b32_e32 v24, 0x7fffffff, v24
.LBB17_29:
	s_or_b32 exec_lo, exec_lo, s10
	v_or_b32_e32 v25, 0xb00, v0
	s_delay_alu instid0(VALU_DEP_1) | instskip(NEXT) | instid1(VALU_DEP_1)
	v_cmp_gt_u32_e64 s9, s72, v25
                                        ; implicit-def: $vgpr25_vgpr26
	s_and_saveexec_b32 s11, s9
	s_cbranch_execz .LBB17_31
; %bb.30:
	v_add_co_u32 v25, s10, 0x5000, v1
	s_delay_alu instid0(VALU_DEP_1)
	v_add_co_ci_u32_e64 v26, s10, 0, v2, s10
	global_load_b64 v[25:26], v[25:26], off offset:2048
	s_waitcnt vmcnt(0)
	v_and_b32_e32 v26, 0x7fffffff, v26
.LBB17_31:
	s_or_b32 exec_lo, exec_lo, s11
	v_or_b32_e32 v27, 0xc00, v0
	s_delay_alu instid0(VALU_DEP_1) | instskip(NEXT) | instid1(VALU_DEP_1)
	v_cmp_gt_u32_e64 s10, s72, v27
                                        ; implicit-def: $vgpr27_vgpr28
	s_and_saveexec_b32 s12, s10
	s_cbranch_execz .LBB17_33
; %bb.32:
	v_add_co_u32 v27, s11, 0x6000, v1
	s_delay_alu instid0(VALU_DEP_1)
	v_add_co_ci_u32_e64 v28, s11, 0, v2, s11
	global_load_b64 v[27:28], v[27:28], off
	s_waitcnt vmcnt(0)
	v_and_b32_e32 v28, 0x7fffffff, v28
.LBB17_33:
	s_or_b32 exec_lo, exec_lo, s12
	v_or_b32_e32 v29, 0xd00, v0
	s_delay_alu instid0(VALU_DEP_1) | instskip(NEXT) | instid1(VALU_DEP_1)
	v_cmp_gt_u32_e64 s11, s72, v29
                                        ; implicit-def: $vgpr29_vgpr30
	s_and_saveexec_b32 s13, s11
	s_cbranch_execz .LBB17_35
; %bb.34:
	v_add_co_u32 v29, s12, 0x6000, v1
	s_delay_alu instid0(VALU_DEP_1)
	v_add_co_ci_u32_e64 v30, s12, 0, v2, s12
	global_load_b64 v[29:30], v[29:30], off offset:2048
	s_waitcnt vmcnt(0)
	v_and_b32_e32 v30, 0x7fffffff, v30
.LBB17_35:
	s_or_b32 exec_lo, exec_lo, s13
	v_or_b32_e32 v31, 0xe00, v0
	s_delay_alu instid0(VALU_DEP_1) | instskip(NEXT) | instid1(VALU_DEP_1)
	v_cmp_gt_u32_e64 s12, s72, v31
                                        ; implicit-def: $vgpr31_vgpr32
	s_and_saveexec_b32 s14, s12
	s_cbranch_execz .LBB17_37
; %bb.36:
	v_add_co_u32 v31, s13, 0x7000, v1
	s_delay_alu instid0(VALU_DEP_1)
	v_add_co_ci_u32_e64 v32, s13, 0, v2, s13
	global_load_b64 v[31:32], v[31:32], off
	s_waitcnt vmcnt(0)
	v_and_b32_e32 v32, 0x7fffffff, v32
.LBB17_37:
	s_or_b32 exec_lo, exec_lo, s14
	v_or_b32_e32 v33, 0xf00, v0
	s_delay_alu instid0(VALU_DEP_1) | instskip(NEXT) | instid1(VALU_DEP_1)
	v_cmp_gt_u32_e64 s13, s72, v33
                                        ; implicit-def: $vgpr33_vgpr34
	s_and_saveexec_b32 s15, s13
	s_cbranch_execz .LBB17_39
; %bb.38:
	v_add_co_u32 v33, s14, 0x7000, v1
	s_delay_alu instid0(VALU_DEP_1)
	v_add_co_ci_u32_e64 v34, s14, 0, v2, s14
	global_load_b64 v[33:34], v[33:34], off offset:2048
	s_waitcnt vmcnt(0)
	v_and_b32_e32 v34, 0x7fffffff, v34
.LBB17_39:
	s_or_b32 exec_lo, exec_lo, s15
	v_or_b32_e32 v35, 0x1000, v0
	s_delay_alu instid0(VALU_DEP_1) | instskip(NEXT) | instid1(VALU_DEP_1)
	v_cmp_gt_u32_e64 s14, s72, v35
                                        ; implicit-def: $vgpr35_vgpr36
	s_and_saveexec_b32 s16, s14
	s_cbranch_execz .LBB17_41
; %bb.40:
	v_add_co_u32 v35, s15, 0x8000, v1
	s_delay_alu instid0(VALU_DEP_1)
	v_add_co_ci_u32_e64 v36, s15, 0, v2, s15
	global_load_b64 v[35:36], v[35:36], off
	s_waitcnt vmcnt(0)
	v_and_b32_e32 v36, 0x7fffffff, v36
.LBB17_41:
	s_or_b32 exec_lo, exec_lo, s16
	v_or_b32_e32 v37, 0x1100, v0
	s_delay_alu instid0(VALU_DEP_1) | instskip(NEXT) | instid1(VALU_DEP_1)
	v_cmp_gt_u32_e64 s15, s72, v37
                                        ; implicit-def: $vgpr37_vgpr38
	s_and_saveexec_b32 s17, s15
	s_cbranch_execz .LBB17_43
; %bb.42:
	v_add_co_u32 v37, s16, 0x8000, v1
	s_delay_alu instid0(VALU_DEP_1)
	v_add_co_ci_u32_e64 v38, s16, 0, v2, s16
	global_load_b64 v[37:38], v[37:38], off offset:2048
	s_waitcnt vmcnt(0)
	v_and_b32_e32 v38, 0x7fffffff, v38
.LBB17_43:
	s_or_b32 exec_lo, exec_lo, s17
	v_or_b32_e32 v39, 0x1200, v0
	s_delay_alu instid0(VALU_DEP_1) | instskip(NEXT) | instid1(VALU_DEP_1)
	v_cmp_gt_u32_e64 s16, s72, v39
                                        ; implicit-def: $vgpr39_vgpr40
	s_and_saveexec_b32 s18, s16
	s_cbranch_execz .LBB17_45
; %bb.44:
	v_add_co_u32 v39, s17, 0x9000, v1
	s_delay_alu instid0(VALU_DEP_1)
	v_add_co_ci_u32_e64 v40, s17, 0, v2, s17
	global_load_b64 v[39:40], v[39:40], off
	s_waitcnt vmcnt(0)
	v_and_b32_e32 v40, 0x7fffffff, v40
.LBB17_45:
	s_or_b32 exec_lo, exec_lo, s18
	v_or_b32_e32 v41, 0x1300, v0
	s_delay_alu instid0(VALU_DEP_1) | instskip(NEXT) | instid1(VALU_DEP_1)
	v_cmp_gt_u32_e64 s17, s72, v41
                                        ; implicit-def: $vgpr41_vgpr42
	s_and_saveexec_b32 s19, s17
	s_cbranch_execz .LBB17_47
; %bb.46:
	v_add_co_u32 v41, s18, 0x9000, v1
	s_delay_alu instid0(VALU_DEP_1)
	v_add_co_ci_u32_e64 v42, s18, 0, v2, s18
	global_load_b64 v[41:42], v[41:42], off offset:2048
	s_waitcnt vmcnt(0)
	v_and_b32_e32 v42, 0x7fffffff, v42
.LBB17_47:
	s_or_b32 exec_lo, exec_lo, s19
	v_or_b32_e32 v43, 0x1400, v0
	s_delay_alu instid0(VALU_DEP_1) | instskip(NEXT) | instid1(VALU_DEP_1)
	v_cmp_gt_u32_e64 s18, s72, v43
                                        ; implicit-def: $vgpr43_vgpr44
	s_and_saveexec_b32 s20, s18
	s_cbranch_execz .LBB17_49
; %bb.48:
	v_add_co_u32 v43, s19, 0xa000, v1
	s_delay_alu instid0(VALU_DEP_1)
	v_add_co_ci_u32_e64 v44, s19, 0, v2, s19
	global_load_b64 v[43:44], v[43:44], off
	s_waitcnt vmcnt(0)
	v_and_b32_e32 v44, 0x7fffffff, v44
.LBB17_49:
	s_or_b32 exec_lo, exec_lo, s20
	v_or_b32_e32 v45, 0x1500, v0
	s_delay_alu instid0(VALU_DEP_1) | instskip(NEXT) | instid1(VALU_DEP_1)
	v_cmp_gt_u32_e64 s19, s72, v45
                                        ; implicit-def: $vgpr45_vgpr46
	s_and_saveexec_b32 s21, s19
	s_cbranch_execz .LBB17_51
; %bb.50:
	v_add_co_u32 v45, s20, 0xa000, v1
	s_delay_alu instid0(VALU_DEP_1)
	v_add_co_ci_u32_e64 v46, s20, 0, v2, s20
	global_load_b64 v[45:46], v[45:46], off offset:2048
	s_waitcnt vmcnt(0)
	v_and_b32_e32 v46, 0x7fffffff, v46
.LBB17_51:
	s_or_b32 exec_lo, exec_lo, s21
	v_or_b32_e32 v47, 0x1600, v0
	s_delay_alu instid0(VALU_DEP_1) | instskip(NEXT) | instid1(VALU_DEP_1)
	v_cmp_gt_u32_e64 s20, s72, v47
                                        ; implicit-def: $vgpr47_vgpr48
	s_and_saveexec_b32 s22, s20
	s_cbranch_execz .LBB17_53
; %bb.52:
	v_add_co_u32 v47, s21, 0xb000, v1
	s_delay_alu instid0(VALU_DEP_1)
	v_add_co_ci_u32_e64 v48, s21, 0, v2, s21
	global_load_b64 v[47:48], v[47:48], off
	s_waitcnt vmcnt(0)
	v_and_b32_e32 v48, 0x7fffffff, v48
.LBB17_53:
	s_or_b32 exec_lo, exec_lo, s22
	v_or_b32_e32 v49, 0x1700, v0
	s_delay_alu instid0(VALU_DEP_1) | instskip(NEXT) | instid1(VALU_DEP_1)
	v_cmp_gt_u32_e64 s21, s72, v49
                                        ; implicit-def: $vgpr49_vgpr50
	s_and_saveexec_b32 s23, s21
	s_cbranch_execz .LBB17_55
; %bb.54:
	v_add_co_u32 v49, s22, 0xb000, v1
	s_delay_alu instid0(VALU_DEP_1)
	v_add_co_ci_u32_e64 v50, s22, 0, v2, s22
	global_load_b64 v[49:50], v[49:50], off offset:2048
	s_waitcnt vmcnt(0)
	v_and_b32_e32 v50, 0x7fffffff, v50
.LBB17_55:
	s_or_b32 exec_lo, exec_lo, s23
	v_or_b32_e32 v51, 0x1800, v0
	s_delay_alu instid0(VALU_DEP_1) | instskip(NEXT) | instid1(VALU_DEP_1)
	v_cmp_gt_u32_e64 s22, s72, v51
                                        ; implicit-def: $vgpr51_vgpr52
	s_and_saveexec_b32 s24, s22
	s_cbranch_execz .LBB17_57
; %bb.56:
	v_add_co_u32 v51, s23, 0xc000, v1
	s_delay_alu instid0(VALU_DEP_1)
	v_add_co_ci_u32_e64 v52, s23, 0, v2, s23
	global_load_b64 v[51:52], v[51:52], off
	s_waitcnt vmcnt(0)
	v_and_b32_e32 v52, 0x7fffffff, v52
.LBB17_57:
	s_or_b32 exec_lo, exec_lo, s24
	v_or_b32_e32 v53, 0x1900, v0
	s_delay_alu instid0(VALU_DEP_1) | instskip(NEXT) | instid1(VALU_DEP_1)
	v_cmp_gt_u32_e64 s23, s72, v53
                                        ; implicit-def: $vgpr53_vgpr54
	s_and_saveexec_b32 s25, s23
	s_cbranch_execz .LBB17_59
; %bb.58:
	v_add_co_u32 v53, s24, 0xc000, v1
	s_delay_alu instid0(VALU_DEP_1)
	v_add_co_ci_u32_e64 v54, s24, 0, v2, s24
	global_load_b64 v[53:54], v[53:54], off offset:2048
	s_waitcnt vmcnt(0)
	v_and_b32_e32 v54, 0x7fffffff, v54
.LBB17_59:
	s_or_b32 exec_lo, exec_lo, s25
	v_or_b32_e32 v55, 0x1a00, v0
	s_delay_alu instid0(VALU_DEP_1) | instskip(NEXT) | instid1(VALU_DEP_1)
	v_cmp_gt_u32_e64 s24, s72, v55
                                        ; implicit-def: $vgpr55_vgpr56
	s_and_saveexec_b32 s26, s24
	s_cbranch_execz .LBB17_61
; %bb.60:
	v_add_co_u32 v55, s25, 0xd000, v1
	s_delay_alu instid0(VALU_DEP_1)
	v_add_co_ci_u32_e64 v56, s25, 0, v2, s25
	global_load_b64 v[55:56], v[55:56], off
	s_waitcnt vmcnt(0)
	v_and_b32_e32 v56, 0x7fffffff, v56
.LBB17_61:
	s_or_b32 exec_lo, exec_lo, s26
	v_or_b32_e32 v57, 0x1b00, v0
	s_delay_alu instid0(VALU_DEP_1) | instskip(NEXT) | instid1(VALU_DEP_1)
	v_cmp_gt_u32_e64 s25, s72, v57
                                        ; implicit-def: $vgpr57_vgpr58
	s_and_saveexec_b32 s27, s25
	s_cbranch_execz .LBB17_63
; %bb.62:
	v_add_co_u32 v57, s26, 0xd000, v1
	s_delay_alu instid0(VALU_DEP_1)
	v_add_co_ci_u32_e64 v58, s26, 0, v2, s26
	global_load_b64 v[57:58], v[57:58], off offset:2048
	s_waitcnt vmcnt(0)
	v_and_b32_e32 v58, 0x7fffffff, v58
.LBB17_63:
	s_or_b32 exec_lo, exec_lo, s27
	v_or_b32_e32 v59, 0x1c00, v0
	s_delay_alu instid0(VALU_DEP_1) | instskip(NEXT) | instid1(VALU_DEP_1)
	v_cmp_gt_u32_e64 s26, s72, v59
                                        ; implicit-def: $vgpr59_vgpr60
	s_and_saveexec_b32 s28, s26
	s_cbranch_execz .LBB17_65
; %bb.64:
	v_add_co_u32 v59, s27, 0xe000, v1
	s_delay_alu instid0(VALU_DEP_1)
	v_add_co_ci_u32_e64 v60, s27, 0, v2, s27
	global_load_b64 v[59:60], v[59:60], off
	s_waitcnt vmcnt(0)
	v_and_b32_e32 v60, 0x7fffffff, v60
.LBB17_65:
	s_or_b32 exec_lo, exec_lo, s28
	v_or_b32_e32 v61, 0x1d00, v0
	s_delay_alu instid0(VALU_DEP_1) | instskip(NEXT) | instid1(VALU_DEP_1)
	v_cmp_gt_u32_e64 s27, s72, v61
                                        ; implicit-def: $vgpr61_vgpr62
	s_and_saveexec_b32 s29, s27
	s_cbranch_execz .LBB17_67
; %bb.66:
	v_add_co_u32 v61, s28, 0xe000, v1
	s_delay_alu instid0(VALU_DEP_1)
	v_add_co_ci_u32_e64 v62, s28, 0, v2, s28
	global_load_b64 v[61:62], v[61:62], off offset:2048
	s_waitcnt vmcnt(0)
	v_and_b32_e32 v62, 0x7fffffff, v62
.LBB17_67:
	s_or_b32 exec_lo, exec_lo, s29
	v_or_b32_e32 v63, 0x1e00, v0
	s_delay_alu instid0(VALU_DEP_1) | instskip(NEXT) | instid1(VALU_DEP_1)
	v_cmp_gt_u32_e64 s28, s72, v63
                                        ; implicit-def: $vgpr63_vgpr64
	s_and_saveexec_b32 s30, s28
	s_cbranch_execz .LBB17_69
; %bb.68:
	v_add_co_u32 v63, s29, 0xf000, v1
	s_delay_alu instid0(VALU_DEP_1)
	v_add_co_ci_u32_e64 v64, s29, 0, v2, s29
	global_load_b64 v[63:64], v[63:64], off
	s_waitcnt vmcnt(0)
	v_and_b32_e32 v64, 0x7fffffff, v64
.LBB17_69:
	s_or_b32 exec_lo, exec_lo, s30
	v_or_b32_e32 v65, 0x1f00, v0
	s_delay_alu instid0(VALU_DEP_1) | instskip(NEXT) | instid1(VALU_DEP_1)
	v_cmp_gt_u32_e64 s29, s72, v65
                                        ; implicit-def: $vgpr65_vgpr66
	s_and_saveexec_b32 s31, s29
	s_cbranch_execz .LBB17_71
; %bb.70:
	v_add_co_u32 v65, s30, 0xf000, v1
	s_delay_alu instid0(VALU_DEP_1)
	v_add_co_ci_u32_e64 v66, s30, 0, v2, s30
	global_load_b64 v[65:66], v[65:66], off offset:2048
	s_waitcnt vmcnt(0)
	v_and_b32_e32 v66, 0x7fffffff, v66
.LBB17_71:
	s_or_b32 exec_lo, exec_lo, s31
	v_or_b32_e32 v67, 0x2000, v0
	s_delay_alu instid0(VALU_DEP_1) | instskip(NEXT) | instid1(VALU_DEP_1)
	v_cmp_gt_u32_e64 s30, s72, v67
                                        ; implicit-def: $vgpr67_vgpr68
	s_and_saveexec_b32 s33, s30
	s_cbranch_execz .LBB17_73
; %bb.72:
	v_add_co_u32 v67, s31, 0x10000, v1
	s_delay_alu instid0(VALU_DEP_1)
	v_add_co_ci_u32_e64 v68, s31, 0, v2, s31
	global_load_b64 v[67:68], v[67:68], off
	s_waitcnt vmcnt(0)
	v_and_b32_e32 v68, 0x7fffffff, v68
.LBB17_73:
	s_or_b32 exec_lo, exec_lo, s33
	v_or_b32_e32 v69, 0x2100, v0
	s_delay_alu instid0(VALU_DEP_1) | instskip(NEXT) | instid1(VALU_DEP_1)
	v_cmp_gt_u32_e64 s31, s72, v69
                                        ; implicit-def: $vgpr69_vgpr70
	s_and_saveexec_b32 s34, s31
	s_cbranch_execz .LBB17_75
; %bb.74:
	v_add_co_u32 v69, s33, 0x10000, v1
	s_delay_alu instid0(VALU_DEP_1)
	v_add_co_ci_u32_e64 v70, s33, 0, v2, s33
	global_load_b64 v[69:70], v[69:70], off offset:2048
	s_waitcnt vmcnt(0)
	v_and_b32_e32 v70, 0x7fffffff, v70
.LBB17_75:
	s_or_b32 exec_lo, exec_lo, s34
	v_or_b32_e32 v71, 0x2200, v0
	s_delay_alu instid0(VALU_DEP_1) | instskip(NEXT) | instid1(VALU_DEP_1)
	v_cmp_gt_u32_e64 s33, s72, v71
                                        ; implicit-def: $vgpr71_vgpr72
	s_and_saveexec_b32 s35, s33
	s_cbranch_execz .LBB17_77
; %bb.76:
	v_add_co_u32 v71, s34, 0x11000, v1
	s_delay_alu instid0(VALU_DEP_1)
	v_add_co_ci_u32_e64 v72, s34, 0, v2, s34
	global_load_b64 v[71:72], v[71:72], off
	s_waitcnt vmcnt(0)
	v_and_b32_e32 v72, 0x7fffffff, v72
.LBB17_77:
	s_or_b32 exec_lo, exec_lo, s35
	v_or_b32_e32 v73, 0x2300, v0
	s_delay_alu instid0(VALU_DEP_1) | instskip(NEXT) | instid1(VALU_DEP_1)
	v_cmp_gt_u32_e64 s34, s72, v73
                                        ; implicit-def: $vgpr73_vgpr74
	s_and_saveexec_b32 s36, s34
	s_cbranch_execz .LBB17_79
; %bb.78:
	v_add_co_u32 v73, s35, 0x11000, v1
	s_delay_alu instid0(VALU_DEP_1)
	v_add_co_ci_u32_e64 v74, s35, 0, v2, s35
	global_load_b64 v[73:74], v[73:74], off offset:2048
	s_waitcnt vmcnt(0)
	v_and_b32_e32 v74, 0x7fffffff, v74
.LBB17_79:
	s_or_b32 exec_lo, exec_lo, s36
	v_or_b32_e32 v75, 0x2400, v0
	s_delay_alu instid0(VALU_DEP_1) | instskip(NEXT) | instid1(VALU_DEP_1)
	v_cmp_gt_u32_e64 s35, s72, v75
                                        ; implicit-def: $vgpr75_vgpr76
	s_and_saveexec_b32 s37, s35
	s_cbranch_execz .LBB17_81
; %bb.80:
	v_add_co_u32 v75, s36, 0x12000, v1
	s_delay_alu instid0(VALU_DEP_1)
	v_add_co_ci_u32_e64 v76, s36, 0, v2, s36
	global_load_b64 v[75:76], v[75:76], off
	s_waitcnt vmcnt(0)
	v_and_b32_e32 v76, 0x7fffffff, v76
.LBB17_81:
	s_or_b32 exec_lo, exec_lo, s37
	v_or_b32_e32 v77, 0x2500, v0
	s_delay_alu instid0(VALU_DEP_1) | instskip(NEXT) | instid1(VALU_DEP_1)
	v_cmp_gt_u32_e64 s36, s72, v77
                                        ; implicit-def: $vgpr77_vgpr78
	s_and_saveexec_b32 s38, s36
	s_cbranch_execz .LBB17_83
; %bb.82:
	v_add_co_u32 v77, s37, 0x12000, v1
	s_delay_alu instid0(VALU_DEP_1)
	v_add_co_ci_u32_e64 v78, s37, 0, v2, s37
	global_load_b64 v[77:78], v[77:78], off offset:2048
	s_waitcnt vmcnt(0)
	v_and_b32_e32 v78, 0x7fffffff, v78
.LBB17_83:
	s_or_b32 exec_lo, exec_lo, s38
	v_or_b32_e32 v79, 0x2600, v0
	s_delay_alu instid0(VALU_DEP_1) | instskip(NEXT) | instid1(VALU_DEP_1)
	v_cmp_gt_u32_e64 s37, s72, v79
                                        ; implicit-def: $vgpr79_vgpr80
	s_and_saveexec_b32 s39, s37
	s_cbranch_execz .LBB17_85
; %bb.84:
	v_add_co_u32 v79, s38, 0x13000, v1
	s_delay_alu instid0(VALU_DEP_1)
	v_add_co_ci_u32_e64 v80, s38, 0, v2, s38
	global_load_b64 v[79:80], v[79:80], off
	s_waitcnt vmcnt(0)
	v_and_b32_e32 v80, 0x7fffffff, v80
.LBB17_85:
	s_or_b32 exec_lo, exec_lo, s39
	v_or_b32_e32 v81, 0x2700, v0
	s_delay_alu instid0(VALU_DEP_1) | instskip(NEXT) | instid1(VALU_DEP_1)
	v_cmp_gt_u32_e64 s38, s72, v81
                                        ; implicit-def: $vgpr81_vgpr82
	s_and_saveexec_b32 s40, s38
	s_cbranch_execz .LBB17_87
; %bb.86:
	v_add_co_u32 v81, s39, 0x13000, v1
	s_delay_alu instid0(VALU_DEP_1)
	v_add_co_ci_u32_e64 v82, s39, 0, v2, s39
	global_load_b64 v[81:82], v[81:82], off offset:2048
	s_waitcnt vmcnt(0)
	v_and_b32_e32 v82, 0x7fffffff, v82
.LBB17_87:
	s_or_b32 exec_lo, exec_lo, s40
	v_or_b32_e32 v83, 0x2800, v0
	s_delay_alu instid0(VALU_DEP_1) | instskip(NEXT) | instid1(VALU_DEP_1)
	v_cmp_gt_u32_e64 s39, s72, v83
                                        ; implicit-def: $vgpr83_vgpr84
	s_and_saveexec_b32 s41, s39
	s_cbranch_execz .LBB17_89
; %bb.88:
	v_add_co_u32 v83, s40, 0x14000, v1
	s_delay_alu instid0(VALU_DEP_1)
	v_add_co_ci_u32_e64 v84, s40, 0, v2, s40
	global_load_b64 v[83:84], v[83:84], off
	s_waitcnt vmcnt(0)
	v_and_b32_e32 v84, 0x7fffffff, v84
.LBB17_89:
	s_or_b32 exec_lo, exec_lo, s41
	v_or_b32_e32 v85, 0x2900, v0
	s_delay_alu instid0(VALU_DEP_1) | instskip(NEXT) | instid1(VALU_DEP_1)
	v_cmp_gt_u32_e64 s40, s72, v85
                                        ; implicit-def: $vgpr85_vgpr86
	s_and_saveexec_b32 s42, s40
	s_cbranch_execz .LBB17_91
; %bb.90:
	v_add_co_u32 v85, s41, 0x14000, v1
	s_delay_alu instid0(VALU_DEP_1)
	v_add_co_ci_u32_e64 v86, s41, 0, v2, s41
	global_load_b64 v[85:86], v[85:86], off offset:2048
	s_waitcnt vmcnt(0)
	v_and_b32_e32 v86, 0x7fffffff, v86
.LBB17_91:
	s_or_b32 exec_lo, exec_lo, s42
	v_or_b32_e32 v87, 0x2a00, v0
	s_delay_alu instid0(VALU_DEP_1) | instskip(NEXT) | instid1(VALU_DEP_1)
	v_cmp_gt_u32_e64 s41, s72, v87
                                        ; implicit-def: $vgpr87_vgpr88
	s_and_saveexec_b32 s43, s41
	s_cbranch_execz .LBB17_93
; %bb.92:
	v_add_co_u32 v87, s42, 0x15000, v1
	s_delay_alu instid0(VALU_DEP_1)
	v_add_co_ci_u32_e64 v88, s42, 0, v2, s42
	global_load_b64 v[87:88], v[87:88], off
	s_waitcnt vmcnt(0)
	v_and_b32_e32 v88, 0x7fffffff, v88
.LBB17_93:
	s_or_b32 exec_lo, exec_lo, s43
	v_or_b32_e32 v89, 0x2b00, v0
	s_delay_alu instid0(VALU_DEP_1) | instskip(NEXT) | instid1(VALU_DEP_1)
	v_cmp_gt_u32_e64 s42, s72, v89
                                        ; implicit-def: $vgpr89_vgpr90
	s_and_saveexec_b32 s44, s42
	s_cbranch_execz .LBB17_95
; %bb.94:
	v_add_co_u32 v89, s43, 0x15000, v1
	s_delay_alu instid0(VALU_DEP_1)
	v_add_co_ci_u32_e64 v90, s43, 0, v2, s43
	global_load_b64 v[89:90], v[89:90], off offset:2048
	s_waitcnt vmcnt(0)
	v_and_b32_e32 v90, 0x7fffffff, v90
.LBB17_95:
	s_or_b32 exec_lo, exec_lo, s44
	v_or_b32_e32 v91, 0x2c00, v0
	s_delay_alu instid0(VALU_DEP_1) | instskip(NEXT) | instid1(VALU_DEP_1)
	v_cmp_gt_u32_e64 s43, s72, v91
                                        ; implicit-def: $vgpr91_vgpr92
	s_and_saveexec_b32 s45, s43
	s_cbranch_execz .LBB17_97
; %bb.96:
	v_add_co_u32 v91, s44, 0x16000, v1
	s_delay_alu instid0(VALU_DEP_1)
	v_add_co_ci_u32_e64 v92, s44, 0, v2, s44
	global_load_b64 v[91:92], v[91:92], off
	s_waitcnt vmcnt(0)
	v_and_b32_e32 v92, 0x7fffffff, v92
.LBB17_97:
	s_or_b32 exec_lo, exec_lo, s45
	v_or_b32_e32 v93, 0x2d00, v0
	s_delay_alu instid0(VALU_DEP_1) | instskip(NEXT) | instid1(VALU_DEP_1)
	v_cmp_gt_u32_e64 s44, s72, v93
                                        ; implicit-def: $vgpr93_vgpr94
	s_and_saveexec_b32 s46, s44
	s_cbranch_execz .LBB17_99
; %bb.98:
	v_add_co_u32 v93, s45, 0x16000, v1
	s_delay_alu instid0(VALU_DEP_1)
	v_add_co_ci_u32_e64 v94, s45, 0, v2, s45
	global_load_b64 v[93:94], v[93:94], off offset:2048
	s_waitcnt vmcnt(0)
	v_and_b32_e32 v94, 0x7fffffff, v94
.LBB17_99:
	s_or_b32 exec_lo, exec_lo, s46
	v_or_b32_e32 v95, 0x2e00, v0
	s_delay_alu instid0(VALU_DEP_1) | instskip(NEXT) | instid1(VALU_DEP_1)
	v_cmp_gt_u32_e64 s45, s72, v95
                                        ; implicit-def: $vgpr95_vgpr96
	s_and_saveexec_b32 s47, s45
	s_cbranch_execz .LBB17_101
; %bb.100:
	v_add_co_u32 v95, s46, 0x17000, v1
	s_delay_alu instid0(VALU_DEP_1)
	v_add_co_ci_u32_e64 v96, s46, 0, v2, s46
	global_load_b64 v[95:96], v[95:96], off
	s_waitcnt vmcnt(0)
	v_and_b32_e32 v96, 0x7fffffff, v96
.LBB17_101:
	s_or_b32 exec_lo, exec_lo, s47
	v_or_b32_e32 v97, 0x2f00, v0
	s_delay_alu instid0(VALU_DEP_1) | instskip(NEXT) | instid1(VALU_DEP_1)
	v_cmp_gt_u32_e64 s46, s72, v97
                                        ; implicit-def: $vgpr97_vgpr98
	s_and_saveexec_b32 s48, s46
	s_cbranch_execz .LBB17_103
; %bb.102:
	v_add_co_u32 v97, s47, 0x17000, v1
	s_delay_alu instid0(VALU_DEP_1)
	v_add_co_ci_u32_e64 v98, s47, 0, v2, s47
	global_load_b64 v[97:98], v[97:98], off offset:2048
	s_waitcnt vmcnt(0)
	v_and_b32_e32 v98, 0x7fffffff, v98
.LBB17_103:
	s_or_b32 exec_lo, exec_lo, s48
	v_or_b32_e32 v99, 0x3000, v0
	s_delay_alu instid0(VALU_DEP_1) | instskip(NEXT) | instid1(VALU_DEP_1)
	v_cmp_gt_u32_e64 s47, s72, v99
                                        ; implicit-def: $vgpr99_vgpr100
	s_and_saveexec_b32 s49, s47
	s_cbranch_execz .LBB17_105
; %bb.104:
	v_add_co_u32 v99, s48, 0x18000, v1
	s_delay_alu instid0(VALU_DEP_1)
	v_add_co_ci_u32_e64 v100, s48, 0, v2, s48
	global_load_b64 v[99:100], v[99:100], off
	s_waitcnt vmcnt(0)
	v_and_b32_e32 v100, 0x7fffffff, v100
.LBB17_105:
	s_or_b32 exec_lo, exec_lo, s49
	v_or_b32_e32 v101, 0x3100, v0
	s_delay_alu instid0(VALU_DEP_1) | instskip(NEXT) | instid1(VALU_DEP_1)
	v_cmp_gt_u32_e64 s48, s72, v101
                                        ; implicit-def: $vgpr101_vgpr102
	s_and_saveexec_b32 s50, s48
	s_cbranch_execz .LBB17_107
; %bb.106:
	v_add_co_u32 v101, s49, 0x18000, v1
	s_delay_alu instid0(VALU_DEP_1)
	v_add_co_ci_u32_e64 v102, s49, 0, v2, s49
	global_load_b64 v[101:102], v[101:102], off offset:2048
	s_waitcnt vmcnt(0)
	v_and_b32_e32 v102, 0x7fffffff, v102
.LBB17_107:
	s_or_b32 exec_lo, exec_lo, s50
	v_or_b32_e32 v103, 0x3200, v0
	s_delay_alu instid0(VALU_DEP_1) | instskip(NEXT) | instid1(VALU_DEP_1)
	v_cmp_gt_u32_e64 s49, s72, v103
                                        ; implicit-def: $vgpr103_vgpr104
	s_and_saveexec_b32 s51, s49
	s_cbranch_execz .LBB17_109
; %bb.108:
	v_add_co_u32 v103, s50, 0x19000, v1
	s_delay_alu instid0(VALU_DEP_1)
	v_add_co_ci_u32_e64 v104, s50, 0, v2, s50
	global_load_b64 v[103:104], v[103:104], off
	s_waitcnt vmcnt(0)
	v_and_b32_e32 v104, 0x7fffffff, v104
.LBB17_109:
	s_or_b32 exec_lo, exec_lo, s51
	v_or_b32_e32 v105, 0x3300, v0
	s_delay_alu instid0(VALU_DEP_1) | instskip(NEXT) | instid1(VALU_DEP_1)
	v_cmp_gt_u32_e64 s50, s72, v105
                                        ; implicit-def: $vgpr105_vgpr106
	s_and_saveexec_b32 s52, s50
	s_cbranch_execz .LBB17_111
; %bb.110:
	v_add_co_u32 v105, s51, 0x19000, v1
	s_delay_alu instid0(VALU_DEP_1)
	v_add_co_ci_u32_e64 v106, s51, 0, v2, s51
	global_load_b64 v[105:106], v[105:106], off offset:2048
	s_waitcnt vmcnt(0)
	v_and_b32_e32 v106, 0x7fffffff, v106
.LBB17_111:
	s_or_b32 exec_lo, exec_lo, s52
	v_or_b32_e32 v107, 0x3400, v0
	s_delay_alu instid0(VALU_DEP_1) | instskip(NEXT) | instid1(VALU_DEP_1)
	v_cmp_gt_u32_e64 s51, s72, v107
                                        ; implicit-def: $vgpr107_vgpr108
	s_and_saveexec_b32 s53, s51
	s_cbranch_execz .LBB17_113
; %bb.112:
	v_add_co_u32 v107, s52, 0x1a000, v1
	s_delay_alu instid0(VALU_DEP_1)
	v_add_co_ci_u32_e64 v108, s52, 0, v2, s52
	global_load_b64 v[107:108], v[107:108], off
	s_waitcnt vmcnt(0)
	v_and_b32_e32 v108, 0x7fffffff, v108
.LBB17_113:
	s_or_b32 exec_lo, exec_lo, s53
	v_or_b32_e32 v109, 0x3500, v0
	s_delay_alu instid0(VALU_DEP_1) | instskip(NEXT) | instid1(VALU_DEP_1)
	v_cmp_gt_u32_e64 s52, s72, v109
                                        ; implicit-def: $vgpr109_vgpr110
	s_and_saveexec_b32 s54, s52
	s_cbranch_execz .LBB17_115
; %bb.114:
	v_add_co_u32 v109, s53, 0x1a000, v1
	s_delay_alu instid0(VALU_DEP_1)
	v_add_co_ci_u32_e64 v110, s53, 0, v2, s53
	global_load_b64 v[109:110], v[109:110], off offset:2048
	s_waitcnt vmcnt(0)
	v_and_b32_e32 v110, 0x7fffffff, v110
.LBB17_115:
	s_or_b32 exec_lo, exec_lo, s54
	v_or_b32_e32 v111, 0x3600, v0
	s_delay_alu instid0(VALU_DEP_1) | instskip(NEXT) | instid1(VALU_DEP_1)
	v_cmp_gt_u32_e64 s53, s72, v111
                                        ; implicit-def: $vgpr111_vgpr112
	s_and_saveexec_b32 s55, s53
	s_cbranch_execz .LBB17_117
; %bb.116:
	v_add_co_u32 v111, s54, 0x1b000, v1
	s_delay_alu instid0(VALU_DEP_1)
	v_add_co_ci_u32_e64 v112, s54, 0, v2, s54
	global_load_b64 v[111:112], v[111:112], off
	s_waitcnt vmcnt(0)
	v_and_b32_e32 v112, 0x7fffffff, v112
.LBB17_117:
	s_or_b32 exec_lo, exec_lo, s55
	v_or_b32_e32 v113, 0x3700, v0
	s_delay_alu instid0(VALU_DEP_1) | instskip(NEXT) | instid1(VALU_DEP_1)
	v_cmp_gt_u32_e64 s54, s72, v113
                                        ; implicit-def: $vgpr113_vgpr114
	s_and_saveexec_b32 s56, s54
	s_cbranch_execz .LBB17_119
; %bb.118:
	v_add_co_u32 v113, s55, 0x1b000, v1
	s_delay_alu instid0(VALU_DEP_1)
	v_add_co_ci_u32_e64 v114, s55, 0, v2, s55
	global_load_b64 v[113:114], v[113:114], off offset:2048
	s_waitcnt vmcnt(0)
	v_and_b32_e32 v114, 0x7fffffff, v114
.LBB17_119:
	s_or_b32 exec_lo, exec_lo, s56
	v_or_b32_e32 v115, 0x3800, v0
	s_delay_alu instid0(VALU_DEP_1) | instskip(NEXT) | instid1(VALU_DEP_1)
	v_cmp_gt_u32_e64 s55, s72, v115
                                        ; implicit-def: $vgpr115_vgpr116
	s_and_saveexec_b32 s57, s55
	s_cbranch_execz .LBB17_121
; %bb.120:
	v_add_co_u32 v115, s56, 0x1c000, v1
	s_delay_alu instid0(VALU_DEP_1)
	v_add_co_ci_u32_e64 v116, s56, 0, v2, s56
	global_load_b64 v[115:116], v[115:116], off
	s_waitcnt vmcnt(0)
	v_and_b32_e32 v116, 0x7fffffff, v116
.LBB17_121:
	s_or_b32 exec_lo, exec_lo, s57
	v_or_b32_e32 v117, 0x3900, v0
	s_delay_alu instid0(VALU_DEP_1) | instskip(NEXT) | instid1(VALU_DEP_1)
	v_cmp_gt_u32_e64 s56, s72, v117
                                        ; implicit-def: $vgpr117_vgpr118
	s_and_saveexec_b32 s58, s56
	s_cbranch_execz .LBB17_123
; %bb.122:
	v_add_co_u32 v117, s57, 0x1c000, v1
	s_delay_alu instid0(VALU_DEP_1)
	v_add_co_ci_u32_e64 v118, s57, 0, v2, s57
	global_load_b64 v[117:118], v[117:118], off offset:2048
	s_waitcnt vmcnt(0)
	v_and_b32_e32 v118, 0x7fffffff, v118
.LBB17_123:
	s_or_b32 exec_lo, exec_lo, s58
	v_or_b32_e32 v119, 0x3a00, v0
	s_delay_alu instid0(VALU_DEP_1) | instskip(NEXT) | instid1(VALU_DEP_1)
	v_cmp_gt_u32_e64 s57, s72, v119
                                        ; implicit-def: $vgpr119_vgpr120
	s_and_saveexec_b32 s59, s57
	s_cbranch_execz .LBB17_125
; %bb.124:
	v_add_co_u32 v119, s58, 0x1d000, v1
	s_delay_alu instid0(VALU_DEP_1)
	v_add_co_ci_u32_e64 v120, s58, 0, v2, s58
	global_load_b64 v[119:120], v[119:120], off
	s_waitcnt vmcnt(0)
	v_and_b32_e32 v120, 0x7fffffff, v120
.LBB17_125:
	s_or_b32 exec_lo, exec_lo, s59
	v_or_b32_e32 v121, 0x3b00, v0
	s_delay_alu instid0(VALU_DEP_1) | instskip(NEXT) | instid1(VALU_DEP_1)
	v_cmp_gt_u32_e64 s58, s72, v121
                                        ; implicit-def: $vgpr121_vgpr122
	s_and_saveexec_b32 s60, s58
	s_cbranch_execz .LBB17_127
; %bb.126:
	v_add_co_u32 v121, s59, 0x1d000, v1
	s_delay_alu instid0(VALU_DEP_1)
	v_add_co_ci_u32_e64 v122, s59, 0, v2, s59
	global_load_b64 v[121:122], v[121:122], off offset:2048
	s_waitcnt vmcnt(0)
	v_and_b32_e32 v122, 0x7fffffff, v122
.LBB17_127:
	s_or_b32 exec_lo, exec_lo, s60
	v_or_b32_e32 v123, 0x3c00, v0
	s_delay_alu instid0(VALU_DEP_1) | instskip(NEXT) | instid1(VALU_DEP_1)
	v_cmp_gt_u32_e64 s59, s72, v123
                                        ; implicit-def: $vgpr123_vgpr124
	s_and_saveexec_b32 s61, s59
	s_cbranch_execz .LBB17_129
; %bb.128:
	v_add_co_u32 v123, s60, 0x1e000, v1
	s_delay_alu instid0(VALU_DEP_1)
	v_add_co_ci_u32_e64 v124, s60, 0, v2, s60
	global_load_b64 v[123:124], v[123:124], off
	s_waitcnt vmcnt(0)
	v_and_b32_e32 v124, 0x7fffffff, v124
.LBB17_129:
	s_or_b32 exec_lo, exec_lo, s61
	v_or_b32_e32 v125, 0x3d00, v0
	s_delay_alu instid0(VALU_DEP_1) | instskip(NEXT) | instid1(VALU_DEP_1)
	v_cmp_gt_u32_e64 s60, s72, v125
                                        ; implicit-def: $vgpr125_vgpr126
	s_and_saveexec_b32 s62, s60
	s_cbranch_execz .LBB17_131
; %bb.130:
	v_add_co_u32 v125, s61, 0x1e000, v1
	s_delay_alu instid0(VALU_DEP_1)
	v_add_co_ci_u32_e64 v126, s61, 0, v2, s61
	global_load_b64 v[125:126], v[125:126], off offset:2048
	s_waitcnt vmcnt(0)
	v_and_b32_e32 v126, 0x7fffffff, v126
.LBB17_131:
	s_or_b32 exec_lo, exec_lo, s62
	v_or_b32_e32 v127, 0x3e00, v0
	s_delay_alu instid0(VALU_DEP_1) | instskip(NEXT) | instid1(VALU_DEP_1)
	v_cmp_gt_u32_e64 s61, s72, v127
                                        ; implicit-def: $vgpr127_vgpr128
	s_and_saveexec_b32 s63, s61
	s_cbranch_execz .LBB17_133
; %bb.132:
	v_add_co_u32 v127, s62, 0x1f000, v1
	s_delay_alu instid0(VALU_DEP_1)
	v_add_co_ci_u32_e64 v128, s62, 0, v2, s62
	global_load_b64 v[127:128], v[127:128], off
	s_waitcnt vmcnt(0)
	v_and_b32_e32 v128, 0x7fffffff, v128
.LBB17_133:
	s_or_b32 exec_lo, exec_lo, s63
	v_or_b32_e32 v129, 0x3f00, v0
	s_delay_alu instid0(VALU_DEP_1) | instskip(NEXT) | instid1(VALU_DEP_1)
	v_cmp_gt_u32_e64 s62, s72, v129
                                        ; implicit-def: $vgpr129_vgpr130
	s_and_saveexec_b32 s73, s62
	s_cbranch_execz .LBB17_135
; %bb.134:
	v_add_co_u32 v1, s63, 0x1f000, v1
	s_delay_alu instid0(VALU_DEP_1)
	v_add_co_ci_u32_e64 v2, s63, 0, v2, s63
	global_load_b64 v[129:130], v[1:2], off offset:2048
	s_waitcnt vmcnt(0)
	v_and_b32_e32 v130, 0x7fffffff, v130
.LBB17_135:
	s_or_b32 exec_lo, exec_lo, s73
	v_add_f64 v[1:2], v[3:4], v[5:6]
	v_add_nc_u32_e32 v6, 1, v131
	s_delay_alu instid0(VALU_DEP_2) | instskip(SKIP_1) | instid1(VALU_DEP_2)
	v_dual_cndmask_b32 v2, v4, v2 :: v_dual_cndmask_b32 v1, v3, v1
	v_cmp_ne_u32_e32 vcc_lo, 31, v131
	v_add_f64 v[3:4], v[1:2], v[7:8]
	v_add_co_ci_u32_e32 v5, vcc_lo, 0, v131, vcc_lo
	s_delay_alu instid0(VALU_DEP_1) | instskip(NEXT) | instid1(VALU_DEP_3)
	v_lshlrev_b32_e32 v5, 2, v5
	v_cndmask_b32_e64 v2, v2, v4, s0
	s_delay_alu instid0(VALU_DEP_4) | instskip(SKIP_1) | instid1(VALU_DEP_1)
	v_cndmask_b32_e64 v1, v1, v3, s0
	s_min_u32 s0, s72, 0x100
	v_add_f64 v[3:4], v[1:2], v[9:10]
	s_delay_alu instid0(VALU_DEP_1) | instskip(NEXT) | instid1(VALU_DEP_2)
	v_cndmask_b32_e64 v2, v2, v4, s1
	v_cndmask_b32_e64 v1, v1, v3, s1
	s_mov_b32 s1, exec_lo
	s_delay_alu instid0(VALU_DEP_1) | instskip(NEXT) | instid1(VALU_DEP_1)
	v_add_f64 v[3:4], v[1:2], v[11:12]
	v_cndmask_b32_e64 v2, v2, v4, s2
	s_delay_alu instid0(VALU_DEP_2) | instskip(NEXT) | instid1(VALU_DEP_1)
	v_cndmask_b32_e64 v1, v1, v3, s2
	v_add_f64 v[3:4], v[1:2], v[13:14]
	s_delay_alu instid0(VALU_DEP_1) | instskip(NEXT) | instid1(VALU_DEP_2)
	v_cndmask_b32_e64 v2, v2, v4, s3
	v_cndmask_b32_e64 v1, v1, v3, s3
	s_delay_alu instid0(VALU_DEP_1) | instskip(NEXT) | instid1(VALU_DEP_1)
	v_add_f64 v[3:4], v[1:2], v[15:16]
	v_cndmask_b32_e64 v2, v2, v4, s4
	s_delay_alu instid0(VALU_DEP_2) | instskip(NEXT) | instid1(VALU_DEP_1)
	v_cndmask_b32_e64 v1, v1, v3, s4
	v_add_f64 v[3:4], v[1:2], v[17:18]
	s_delay_alu instid0(VALU_DEP_1) | instskip(NEXT) | instid1(VALU_DEP_2)
	v_cndmask_b32_e64 v2, v2, v4, s5
	v_cndmask_b32_e64 v1, v1, v3, s5
	;; [unrolled: 9-line block ×30, first 2 shown]
	ds_bpermute_b32 v1, v5, v3
	ds_bpermute_b32 v2, v5, v4
	v_and_b32_e32 v5, 0xe0, v0
	s_delay_alu instid0(VALU_DEP_1) | instskip(NEXT) | instid1(VALU_DEP_1)
	v_sub_nc_u32_e64 v5, s0, v5 clamp
	v_cmpx_lt_u32_e64 v6, v5
	s_cbranch_execz .LBB17_137
; %bb.136:
	s_waitcnt lgkmcnt(0)
	v_add_f64 v[3:4], v[3:4], v[1:2]
.LBB17_137:
	s_or_b32 exec_lo, exec_lo, s1
	v_cmp_gt_u32_e32 vcc_lo, 30, v131
	v_add_nc_u32_e32 v6, 2, v131
	s_mov_b32 s1, exec_lo
	s_waitcnt lgkmcnt(1)
	v_cndmask_b32_e64 v1, 0, 1, vcc_lo
	s_delay_alu instid0(VALU_DEP_1) | instskip(SKIP_1) | instid1(VALU_DEP_1)
	v_lshlrev_b32_e32 v1, 1, v1
	s_waitcnt lgkmcnt(0)
	v_add_lshl_u32 v2, v1, v131, 2
	ds_bpermute_b32 v1, v2, v3
	ds_bpermute_b32 v2, v2, v4
	v_cmpx_lt_u32_e64 v6, v5
	s_cbranch_execz .LBB17_139
; %bb.138:
	s_waitcnt lgkmcnt(0)
	v_add_f64 v[3:4], v[3:4], v[1:2]
.LBB17_139:
	s_or_b32 exec_lo, exec_lo, s1
	v_cmp_gt_u32_e32 vcc_lo, 28, v131
	v_add_nc_u32_e32 v6, 4, v131
	s_mov_b32 s1, exec_lo
	s_waitcnt lgkmcnt(1)
	v_cndmask_b32_e64 v1, 0, 1, vcc_lo
	s_delay_alu instid0(VALU_DEP_1) | instskip(SKIP_1) | instid1(VALU_DEP_1)
	v_lshlrev_b32_e32 v1, 2, v1
	s_waitcnt lgkmcnt(0)
	v_add_lshl_u32 v2, v1, v131, 2
	ds_bpermute_b32 v1, v2, v3
	ds_bpermute_b32 v2, v2, v4
	;; [unrolled: 18-line block ×4, first 2 shown]
	v_cmpx_lt_u32_e64 v6, v5
	s_cbranch_execz .LBB17_145
; %bb.144:
	s_waitcnt lgkmcnt(0)
	v_add_f64 v[3:4], v[3:4], v[1:2]
.LBB17_145:
	s_or_b32 exec_lo, exec_lo, s1
	s_delay_alu instid0(SALU_CYCLE_1)
	s_mov_b32 s1, exec_lo
	v_cmpx_eq_u32_e32 0, v131
	s_cbranch_execz .LBB17_147
; %bb.146:
	s_waitcnt lgkmcnt(1)
	v_lshrrev_b32_e32 v1, 2, v0
	s_delay_alu instid0(VALU_DEP_1)
	v_and_b32_e32 v1, 56, v1
	ds_store_b64 v1, v[3:4] offset:64
.LBB17_147:
	s_or_b32 exec_lo, exec_lo, s1
	s_delay_alu instid0(SALU_CYCLE_1)
	s_mov_b32 s1, exec_lo
	s_waitcnt lgkmcnt(0)
	s_barrier
	buffer_gl0_inv
	v_cmpx_gt_u32_e32 8, v0
	s_cbranch_execz .LBB17_155
; %bb.148:
	v_lshlrev_b32_e32 v1, 3, v131
	v_and_b32_e32 v5, 7, v131
	s_add_i32 s0, s0, 31
	s_mov_b32 s2, exec_lo
	s_lshr_b32 s0, s0, 5
	ds_load_b64 v[3:4], v1 offset:64
	v_cmp_ne_u32_e32 vcc_lo, 7, v5
	v_add_nc_u32_e32 v6, 1, v5
	v_add_co_ci_u32_e32 v1, vcc_lo, 0, v131, vcc_lo
	s_delay_alu instid0(VALU_DEP_1)
	v_lshlrev_b32_e32 v2, 2, v1
	s_waitcnt lgkmcnt(0)
	ds_bpermute_b32 v1, v2, v3
	ds_bpermute_b32 v2, v2, v4
	v_cmpx_gt_u32_e64 s0, v6
	s_cbranch_execz .LBB17_150
; %bb.149:
	s_waitcnt lgkmcnt(0)
	v_add_f64 v[3:4], v[3:4], v[1:2]
.LBB17_150:
	s_or_b32 exec_lo, exec_lo, s2
	v_cmp_gt_u32_e32 vcc_lo, 6, v5
	v_add_nc_u32_e32 v6, 2, v5
	s_mov_b32 s2, exec_lo
	s_waitcnt lgkmcnt(1)
	v_cndmask_b32_e64 v1, 0, 1, vcc_lo
	s_delay_alu instid0(VALU_DEP_1) | instskip(SKIP_1) | instid1(VALU_DEP_1)
	v_lshlrev_b32_e32 v1, 1, v1
	s_waitcnt lgkmcnt(0)
	v_add_lshl_u32 v2, v1, v131, 2
	ds_bpermute_b32 v1, v2, v3
	ds_bpermute_b32 v2, v2, v4
	v_cmpx_gt_u32_e64 s0, v6
	s_cbranch_execz .LBB17_152
; %bb.151:
	s_waitcnt lgkmcnt(0)
	v_add_f64 v[3:4], v[3:4], v[1:2]
.LBB17_152:
	s_or_b32 exec_lo, exec_lo, s2
	v_cmp_gt_u32_e32 vcc_lo, 4, v5
	v_add_nc_u32_e32 v5, 4, v5
	s_waitcnt lgkmcnt(1)
	v_cndmask_b32_e64 v1, 0, 1, vcc_lo
	s_delay_alu instid0(VALU_DEP_2) | instskip(NEXT) | instid1(VALU_DEP_2)
	v_cmp_gt_u32_e32 vcc_lo, s0, v5
	v_lshlrev_b32_e32 v1, 2, v1
	s_waitcnt lgkmcnt(0)
	s_delay_alu instid0(VALU_DEP_1)
	v_add_lshl_u32 v2, v1, v131, 2
	ds_bpermute_b32 v1, v2, v3
	ds_bpermute_b32 v2, v2, v4
	s_and_saveexec_b32 s0, vcc_lo
	s_cbranch_execz .LBB17_154
; %bb.153:
	s_waitcnt lgkmcnt(0)
	v_add_f64 v[3:4], v[3:4], v[1:2]
.LBB17_154:
	s_or_b32 exec_lo, exec_lo, s0
.LBB17_155:
	s_delay_alu instid0(SALU_CYCLE_1)
	s_or_b32 exec_lo, exec_lo, s1
.LBB17_156:
	s_delay_alu instid0(SALU_CYCLE_1)
	s_mov_b32 s0, exec_lo
	v_cmpx_eq_u32_e32 0, v0
	s_cbranch_execz .LBB17_158
; %bb.157:
	s_waitcnt lgkmcnt(1)
	s_delay_alu instid0(VALU_DEP_2)
	v_add_f64 v[0:1], v[3:4], s[68:69]
	s_lshl_b64 s[0:1], s[70:71], 3
	s_waitcnt lgkmcnt(0)
	v_mov_b32_e32 v2, 0
	s_add_u32 s0, s66, s0
	s_addc_u32 s1, s67, s1
	s_cmp_eq_u64 s[64:65], 0
	s_cselect_b32 s2, -1, 0
	s_delay_alu instid0(VALU_DEP_2) | instid1(SALU_CYCLE_1)
	v_cndmask_b32_e64 v1, v1, s69, s2
	s_delay_alu instid0(VALU_DEP_3)
	v_cndmask_b32_e64 v0, v0, s68, s2
	global_store_b64 v2, v[0:1], s[0:1]
.LBB17_158:
	s_nop 0
	s_sendmsg sendmsg(MSG_DEALLOC_VGPRS)
	s_endpgm
	.section	.rodata,"a",@progbits
	.p2align	6, 0x0
	.amdhsa_kernel _ZN7rocprim6detail19block_reduce_kernelILb1ELb1ELj16ENS0_21wrapped_reduce_configINS_14default_configEdEEdN6thrust11hip_rocprim26transform_input_iterator_tIdNS5_6detail15normal_iteratorINS5_10device_ptrIdEEEEZ4mainEUldE_EEPddNS5_4plusIdEEEEvT4_mT5_T6_T7_
		.amdhsa_group_segment_fixed_size 128
		.amdhsa_private_segment_fixed_size 0
		.amdhsa_kernarg_size 44
		.amdhsa_user_sgpr_count 15
		.amdhsa_user_sgpr_dispatch_ptr 0
		.amdhsa_user_sgpr_queue_ptr 0
		.amdhsa_user_sgpr_kernarg_segment_ptr 1
		.amdhsa_user_sgpr_dispatch_id 0
		.amdhsa_user_sgpr_private_segment_size 0
		.amdhsa_wavefront_size32 1
		.amdhsa_uses_dynamic_stack 0
		.amdhsa_enable_private_segment 0
		.amdhsa_system_sgpr_workgroup_id_x 1
		.amdhsa_system_sgpr_workgroup_id_y 0
		.amdhsa_system_sgpr_workgroup_id_z 0
		.amdhsa_system_sgpr_workgroup_info 0
		.amdhsa_system_vgpr_workitem_id 0
		.amdhsa_next_free_vgpr 132
		.amdhsa_next_free_sgpr 74
		.amdhsa_reserve_vcc 1
		.amdhsa_float_round_mode_32 0
		.amdhsa_float_round_mode_16_64 0
		.amdhsa_float_denorm_mode_32 3
		.amdhsa_float_denorm_mode_16_64 3
		.amdhsa_dx10_clamp 1
		.amdhsa_ieee_mode 1
		.amdhsa_fp16_overflow 0
		.amdhsa_workgroup_processor_mode 1
		.amdhsa_memory_ordered 1
		.amdhsa_forward_progress 0
		.amdhsa_shared_vgpr_count 0
		.amdhsa_exception_fp_ieee_invalid_op 0
		.amdhsa_exception_fp_denorm_src 0
		.amdhsa_exception_fp_ieee_div_zero 0
		.amdhsa_exception_fp_ieee_overflow 0
		.amdhsa_exception_fp_ieee_underflow 0
		.amdhsa_exception_fp_ieee_inexact 0
		.amdhsa_exception_int_div_zero 0
	.end_amdhsa_kernel
	.section	.text._ZN7rocprim6detail19block_reduce_kernelILb1ELb1ELj16ENS0_21wrapped_reduce_configINS_14default_configEdEEdN6thrust11hip_rocprim26transform_input_iterator_tIdNS5_6detail15normal_iteratorINS5_10device_ptrIdEEEEZ4mainEUldE_EEPddNS5_4plusIdEEEEvT4_mT5_T6_T7_,"axG",@progbits,_ZN7rocprim6detail19block_reduce_kernelILb1ELb1ELj16ENS0_21wrapped_reduce_configINS_14default_configEdEEdN6thrust11hip_rocprim26transform_input_iterator_tIdNS5_6detail15normal_iteratorINS5_10device_ptrIdEEEEZ4mainEUldE_EEPddNS5_4plusIdEEEEvT4_mT5_T6_T7_,comdat
.Lfunc_end17:
	.size	_ZN7rocprim6detail19block_reduce_kernelILb1ELb1ELj16ENS0_21wrapped_reduce_configINS_14default_configEdEEdN6thrust11hip_rocprim26transform_input_iterator_tIdNS5_6detail15normal_iteratorINS5_10device_ptrIdEEEEZ4mainEUldE_EEPddNS5_4plusIdEEEEvT4_mT5_T6_T7_, .Lfunc_end17-_ZN7rocprim6detail19block_reduce_kernelILb1ELb1ELj16ENS0_21wrapped_reduce_configINS_14default_configEdEEdN6thrust11hip_rocprim26transform_input_iterator_tIdNS5_6detail15normal_iteratorINS5_10device_ptrIdEEEEZ4mainEUldE_EEPddNS5_4plusIdEEEEvT4_mT5_T6_T7_
                                        ; -- End function
	.section	.AMDGPU.csdata,"",@progbits
; Kernel info:
; codeLenInByte = 10116
; NumSgprs: 76
; NumVgprs: 132
; ScratchSize: 0
; MemoryBound: 1
; FloatMode: 240
; IeeeMode: 1
; LDSByteSize: 128 bytes/workgroup (compile time only)
; SGPRBlocks: 9
; VGPRBlocks: 16
; NumSGPRsForWavesPerEU: 76
; NumVGPRsForWavesPerEU: 132
; Occupancy: 10
; WaveLimiterHint : 1
; COMPUTE_PGM_RSRC2:SCRATCH_EN: 0
; COMPUTE_PGM_RSRC2:USER_SGPR: 15
; COMPUTE_PGM_RSRC2:TRAP_HANDLER: 0
; COMPUTE_PGM_RSRC2:TGID_X_EN: 1
; COMPUTE_PGM_RSRC2:TGID_Y_EN: 0
; COMPUTE_PGM_RSRC2:TGID_Z_EN: 0
; COMPUTE_PGM_RSRC2:TIDIG_COMP_CNT: 0
	.section	.text._ZN7rocprim6detail19block_reduce_kernelILb1ELb0ELj16ENS0_21wrapped_reduce_configINS_14default_configEdEEdN6thrust11hip_rocprim26transform_input_iterator_tIdNS5_6detail15normal_iteratorINS5_10device_ptrIdEEEEZ4mainEUldE_EEPddNS5_4plusIdEEEEvT4_mT5_T6_T7_,"axG",@progbits,_ZN7rocprim6detail19block_reduce_kernelILb1ELb0ELj16ENS0_21wrapped_reduce_configINS_14default_configEdEEdN6thrust11hip_rocprim26transform_input_iterator_tIdNS5_6detail15normal_iteratorINS5_10device_ptrIdEEEEZ4mainEUldE_EEPddNS5_4plusIdEEEEvT4_mT5_T6_T7_,comdat
	.globl	_ZN7rocprim6detail19block_reduce_kernelILb1ELb0ELj16ENS0_21wrapped_reduce_configINS_14default_configEdEEdN6thrust11hip_rocprim26transform_input_iterator_tIdNS5_6detail15normal_iteratorINS5_10device_ptrIdEEEEZ4mainEUldE_EEPddNS5_4plusIdEEEEvT4_mT5_T6_T7_ ; -- Begin function _ZN7rocprim6detail19block_reduce_kernelILb1ELb0ELj16ENS0_21wrapped_reduce_configINS_14default_configEdEEdN6thrust11hip_rocprim26transform_input_iterator_tIdNS5_6detail15normal_iteratorINS5_10device_ptrIdEEEEZ4mainEUldE_EEPddNS5_4plusIdEEEEvT4_mT5_T6_T7_
	.p2align	8
	.type	_ZN7rocprim6detail19block_reduce_kernelILb1ELb0ELj16ENS0_21wrapped_reduce_configINS_14default_configEdEEdN6thrust11hip_rocprim26transform_input_iterator_tIdNS5_6detail15normal_iteratorINS5_10device_ptrIdEEEEZ4mainEUldE_EEPddNS5_4plusIdEEEEvT4_mT5_T6_T7_,@function
_ZN7rocprim6detail19block_reduce_kernelILb1ELb0ELj16ENS0_21wrapped_reduce_configINS_14default_configEdEEdN6thrust11hip_rocprim26transform_input_iterator_tIdNS5_6detail15normal_iteratorINS5_10device_ptrIdEEEEZ4mainEUldE_EEPddNS5_4plusIdEEEEvT4_mT5_T6_T7_: ; @_ZN7rocprim6detail19block_reduce_kernelILb1ELb0ELj16ENS0_21wrapped_reduce_configINS_14default_configEdEEdN6thrust11hip_rocprim26transform_input_iterator_tIdNS5_6detail15normal_iteratorINS5_10device_ptrIdEEEEZ4mainEUldE_EEPddNS5_4plusIdEEEEvT4_mT5_T6_T7_
; %bb.0:
	s_clause 0x2
	s_load_b128 s[4:7], s[0:1], 0x10
	s_load_b64 s[8:9], s[0:1], 0x0
	s_load_b64 s[0:1], s[0:1], 0x20
	s_mov_b32 s11, 0
	v_mbcnt_lo_u32_b32 v5, -1, 0
	s_mov_b32 s2, s15
	s_mov_b32 s3, s11
	s_lshl_b32 s10, s15, 8
	s_waitcnt lgkmcnt(0)
	s_lshr_b64 s[12:13], s[4:5], 8
	s_delay_alu instid0(SALU_CYCLE_1)
	s_cmp_lg_u64 s[12:13], s[2:3]
	s_cbranch_scc0 .LBB18_6
; %bb.1:
	s_lshl_b64 s[12:13], s[10:11], 3
	v_lshlrev_b32_e32 v1, 3, v0
	s_add_u32 s12, s8, s12
	s_addc_u32 s13, s9, s13
	global_load_b64 v[1:2], v1, s[12:13]
	s_mov_b32 s12, exec_lo
	s_waitcnt vmcnt(0)
	v_and_b32_e32 v4, 0x7fffffff, v2
	v_mov_b32_dpp v3, v1 quad_perm:[1,0,3,2] row_mask:0xf bank_mask:0xf
	s_delay_alu instid0(VALU_DEP_2) | instskip(NEXT) | instid1(VALU_DEP_1)
	v_mov_b32_dpp v4, v4 quad_perm:[1,0,3,2] row_mask:0xf bank_mask:0xf
	v_add_f64 v[1:2], |v[1:2]|, v[3:4]
	s_delay_alu instid0(VALU_DEP_1) | instskip(NEXT) | instid1(VALU_DEP_2)
	v_mov_b32_dpp v3, v1 quad_perm:[2,3,0,1] row_mask:0xf bank_mask:0xf
	v_mov_b32_dpp v4, v2 quad_perm:[2,3,0,1] row_mask:0xf bank_mask:0xf
	s_delay_alu instid0(VALU_DEP_1) | instskip(NEXT) | instid1(VALU_DEP_1)
	v_add_f64 v[1:2], v[1:2], v[3:4]
	v_mov_b32_dpp v3, v1 row_ror:4 row_mask:0xf bank_mask:0xf
	s_delay_alu instid0(VALU_DEP_2) | instskip(NEXT) | instid1(VALU_DEP_1)
	v_mov_b32_dpp v4, v2 row_ror:4 row_mask:0xf bank_mask:0xf
	v_add_f64 v[1:2], v[1:2], v[3:4]
	s_delay_alu instid0(VALU_DEP_1) | instskip(NEXT) | instid1(VALU_DEP_2)
	v_mov_b32_dpp v3, v1 row_ror:8 row_mask:0xf bank_mask:0xf
	v_mov_b32_dpp v4, v2 row_ror:8 row_mask:0xf bank_mask:0xf
	s_delay_alu instid0(VALU_DEP_1)
	v_add_f64 v[1:2], v[1:2], v[3:4]
	ds_swizzle_b32 v3, v1 offset:swizzle(BROADCAST,32,15)
	ds_swizzle_b32 v4, v2 offset:swizzle(BROADCAST,32,15)
	s_waitcnt lgkmcnt(0)
	v_add_f64 v[1:2], v[1:2], v[3:4]
	v_mov_b32_e32 v3, 0
	ds_bpermute_b32 v1, v3, v1 offset:124
	ds_bpermute_b32 v2, v3, v2 offset:124
	v_cmpx_eq_u32_e32 0, v5
	s_cbranch_execz .LBB18_3
; %bb.2:
	v_lshrrev_b32_e32 v3, 2, v0
	s_delay_alu instid0(VALU_DEP_1)
	v_and_b32_e32 v3, 56, v3
	s_waitcnt lgkmcnt(0)
	ds_store_b64 v3, v[1:2]
.LBB18_3:
	s_or_b32 exec_lo, exec_lo, s12
	s_delay_alu instid0(SALU_CYCLE_1)
	s_mov_b32 s12, exec_lo
	s_waitcnt lgkmcnt(0)
	s_barrier
	buffer_gl0_inv
	v_cmpx_gt_u32_e32 32, v0
	s_cbranch_execz .LBB18_5
; %bb.4:
	v_and_b32_e32 v6, 7, v5
	s_delay_alu instid0(VALU_DEP_1) | instskip(SKIP_4) | instid1(VALU_DEP_2)
	v_lshlrev_b32_e32 v1, 3, v6
	v_cmp_ne_u32_e32 vcc_lo, 7, v6
	ds_load_b64 v[1:2], v1
	v_add_co_ci_u32_e32 v3, vcc_lo, 0, v5, vcc_lo
	v_cmp_gt_u32_e32 vcc_lo, 6, v6
	v_lshlrev_b32_e32 v4, 2, v3
	s_waitcnt lgkmcnt(0)
	ds_bpermute_b32 v3, v4, v1
	ds_bpermute_b32 v4, v4, v2
	s_waitcnt lgkmcnt(0)
	v_add_f64 v[1:2], v[1:2], v[3:4]
	v_cndmask_b32_e64 v3, 0, 1, vcc_lo
	v_cmp_gt_u32_e32 vcc_lo, 4, v6
	s_delay_alu instid0(VALU_DEP_2) | instskip(NEXT) | instid1(VALU_DEP_1)
	v_lshlrev_b32_e32 v3, 1, v3
	v_add_lshl_u32 v4, v3, v5, 2
	ds_bpermute_b32 v3, v4, v1
	ds_bpermute_b32 v4, v4, v2
	s_waitcnt lgkmcnt(0)
	v_add_f64 v[1:2], v[1:2], v[3:4]
	v_cndmask_b32_e64 v3, 0, 1, vcc_lo
	s_delay_alu instid0(VALU_DEP_1) | instskip(NEXT) | instid1(VALU_DEP_1)
	v_lshlrev_b32_e32 v3, 2, v3
	v_add_lshl_u32 v4, v3, v5, 2
	ds_bpermute_b32 v3, v4, v1
	ds_bpermute_b32 v4, v4, v2
	s_waitcnt lgkmcnt(0)
	v_add_f64 v[1:2], v[1:2], v[3:4]
.LBB18_5:
	s_or_b32 exec_lo, exec_lo, s12
	s_branch .LBB18_30
.LBB18_6:
                                        ; implicit-def: $vgpr1_vgpr2
	s_cbranch_execz .LBB18_30
; %bb.7:
	s_sub_i32 s12, s4, s10
	s_mov_b32 s13, exec_lo
                                        ; implicit-def: $vgpr1_vgpr2
	v_cmpx_gt_u32_e64 s12, v0
	s_cbranch_execz .LBB18_9
; %bb.8:
	s_lshl_b64 s[10:11], s[10:11], 3
	v_lshlrev_b32_e32 v1, 3, v0
	s_add_u32 s8, s8, s10
	s_addc_u32 s9, s9, s11
	global_load_b64 v[1:2], v1, s[8:9]
	s_waitcnt vmcnt(0)
	v_and_b32_e32 v2, 0x7fffffff, v2
.LBB18_9:
	s_or_b32 exec_lo, exec_lo, s13
	v_cmp_ne_u32_e32 vcc_lo, 31, v5
	v_and_b32_e32 v6, 0xe0, v0
	s_min_u32 s8, s12, 0x100
	v_add_nc_u32_e32 v7, 1, v5
	s_mov_b32 s9, exec_lo
	v_add_co_ci_u32_e32 v3, vcc_lo, 0, v5, vcc_lo
	v_sub_nc_u32_e64 v6, s8, v6 clamp
	s_delay_alu instid0(VALU_DEP_2)
	v_lshlrev_b32_e32 v4, 2, v3
	ds_bpermute_b32 v3, v4, v1
	ds_bpermute_b32 v4, v4, v2
	v_cmpx_lt_u32_e64 v7, v6
	s_cbranch_execz .LBB18_11
; %bb.10:
	s_waitcnt lgkmcnt(0)
	v_add_f64 v[1:2], v[1:2], v[3:4]
.LBB18_11:
	s_or_b32 exec_lo, exec_lo, s9
	v_cmp_gt_u32_e32 vcc_lo, 30, v5
	v_add_nc_u32_e32 v7, 2, v5
	s_mov_b32 s9, exec_lo
	s_waitcnt lgkmcnt(1)
	v_cndmask_b32_e64 v3, 0, 1, vcc_lo
	s_delay_alu instid0(VALU_DEP_1) | instskip(SKIP_1) | instid1(VALU_DEP_1)
	v_lshlrev_b32_e32 v3, 1, v3
	s_waitcnt lgkmcnt(0)
	v_add_lshl_u32 v4, v3, v5, 2
	ds_bpermute_b32 v3, v4, v1
	ds_bpermute_b32 v4, v4, v2
	v_cmpx_lt_u32_e64 v7, v6
	s_cbranch_execz .LBB18_13
; %bb.12:
	s_waitcnt lgkmcnt(0)
	v_add_f64 v[1:2], v[1:2], v[3:4]
.LBB18_13:
	s_or_b32 exec_lo, exec_lo, s9
	v_cmp_gt_u32_e32 vcc_lo, 28, v5
	v_add_nc_u32_e32 v7, 4, v5
	s_mov_b32 s9, exec_lo
	s_waitcnt lgkmcnt(1)
	v_cndmask_b32_e64 v3, 0, 1, vcc_lo
	s_delay_alu instid0(VALU_DEP_1) | instskip(SKIP_1) | instid1(VALU_DEP_1)
	v_lshlrev_b32_e32 v3, 2, v3
	s_waitcnt lgkmcnt(0)
	v_add_lshl_u32 v4, v3, v5, 2
	;; [unrolled: 18-line block ×4, first 2 shown]
	ds_bpermute_b32 v3, v4, v1
	ds_bpermute_b32 v4, v4, v2
	v_cmpx_lt_u32_e64 v7, v6
	s_cbranch_execz .LBB18_19
; %bb.18:
	s_waitcnt lgkmcnt(0)
	v_add_f64 v[1:2], v[1:2], v[3:4]
.LBB18_19:
	s_or_b32 exec_lo, exec_lo, s9
	s_delay_alu instid0(SALU_CYCLE_1)
	s_mov_b32 s9, exec_lo
	v_cmpx_eq_u32_e32 0, v5
	s_cbranch_execz .LBB18_21
; %bb.20:
	s_waitcnt lgkmcnt(1)
	v_lshrrev_b32_e32 v3, 2, v0
	s_delay_alu instid0(VALU_DEP_1)
	v_and_b32_e32 v3, 56, v3
	ds_store_b64 v3, v[1:2] offset:64
.LBB18_21:
	s_or_b32 exec_lo, exec_lo, s9
	s_delay_alu instid0(SALU_CYCLE_1)
	s_mov_b32 s9, exec_lo
	s_waitcnt lgkmcnt(0)
	s_barrier
	buffer_gl0_inv
	v_cmpx_gt_u32_e32 8, v0
	s_cbranch_execz .LBB18_29
; %bb.22:
	v_lshlrev_b32_e32 v1, 3, v5
	v_and_b32_e32 v6, 7, v5
	s_add_i32 s8, s8, 31
	s_mov_b32 s10, exec_lo
	s_lshr_b32 s8, s8, 5
	ds_load_b64 v[1:2], v1 offset:64
	v_cmp_ne_u32_e32 vcc_lo, 7, v6
	v_add_nc_u32_e32 v7, 1, v6
	v_add_co_ci_u32_e32 v3, vcc_lo, 0, v5, vcc_lo
	s_delay_alu instid0(VALU_DEP_1)
	v_lshlrev_b32_e32 v4, 2, v3
	s_waitcnt lgkmcnt(0)
	ds_bpermute_b32 v3, v4, v1
	ds_bpermute_b32 v4, v4, v2
	v_cmpx_gt_u32_e64 s8, v7
	s_cbranch_execz .LBB18_24
; %bb.23:
	s_waitcnt lgkmcnt(0)
	v_add_f64 v[1:2], v[1:2], v[3:4]
.LBB18_24:
	s_or_b32 exec_lo, exec_lo, s10
	v_cmp_gt_u32_e32 vcc_lo, 6, v6
	v_add_nc_u32_e32 v7, 2, v6
	s_mov_b32 s10, exec_lo
	s_waitcnt lgkmcnt(1)
	v_cndmask_b32_e64 v3, 0, 1, vcc_lo
	s_delay_alu instid0(VALU_DEP_1) | instskip(SKIP_1) | instid1(VALU_DEP_1)
	v_lshlrev_b32_e32 v3, 1, v3
	s_waitcnt lgkmcnt(0)
	v_add_lshl_u32 v4, v3, v5, 2
	ds_bpermute_b32 v3, v4, v1
	ds_bpermute_b32 v4, v4, v2
	v_cmpx_gt_u32_e64 s8, v7
	s_cbranch_execz .LBB18_26
; %bb.25:
	s_waitcnt lgkmcnt(0)
	v_add_f64 v[1:2], v[1:2], v[3:4]
.LBB18_26:
	s_or_b32 exec_lo, exec_lo, s10
	v_cmp_gt_u32_e32 vcc_lo, 4, v6
	s_waitcnt lgkmcnt(1)
	v_cndmask_b32_e64 v3, 0, 1, vcc_lo
	s_delay_alu instid0(VALU_DEP_1) | instskip(SKIP_1) | instid1(VALU_DEP_1)
	v_lshlrev_b32_e32 v3, 2, v3
	s_waitcnt lgkmcnt(0)
	v_add_lshl_u32 v4, v3, v5, 2
	v_add_nc_u32_e32 v5, 4, v6
	ds_bpermute_b32 v3, v4, v1
	ds_bpermute_b32 v4, v4, v2
	v_cmp_gt_u32_e32 vcc_lo, s8, v5
	s_and_saveexec_b32 s8, vcc_lo
	s_cbranch_execz .LBB18_28
; %bb.27:
	s_waitcnt lgkmcnt(0)
	v_add_f64 v[1:2], v[1:2], v[3:4]
.LBB18_28:
	s_or_b32 exec_lo, exec_lo, s8
.LBB18_29:
	s_delay_alu instid0(SALU_CYCLE_1)
	s_or_b32 exec_lo, exec_lo, s9
.LBB18_30:
	s_delay_alu instid0(SALU_CYCLE_1)
	s_mov_b32 s8, exec_lo
	v_cmpx_eq_u32_e32 0, v0
	s_cbranch_execz .LBB18_32
; %bb.31:
	s_delay_alu instid0(VALU_DEP_2)
	v_add_f64 v[0:1], v[1:2], s[0:1]
	s_lshl_b64 s[2:3], s[2:3], 3
	v_mov_b32_e32 v2, 0
	s_add_u32 s2, s6, s2
	s_addc_u32 s3, s7, s3
	s_cmp_eq_u64 s[4:5], 0
	s_cselect_b32 s4, -1, 0
	s_delay_alu instid0(VALU_DEP_2) | instid1(SALU_CYCLE_1)
	v_cndmask_b32_e64 v1, v1, s1, s4
	s_delay_alu instid0(VALU_DEP_3)
	v_cndmask_b32_e64 v0, v0, s0, s4
	global_store_b64 v2, v[0:1], s[2:3]
.LBB18_32:
	s_nop 0
	s_sendmsg sendmsg(MSG_DEALLOC_VGPRS)
	s_endpgm
	.section	.rodata,"a",@progbits
	.p2align	6, 0x0
	.amdhsa_kernel _ZN7rocprim6detail19block_reduce_kernelILb1ELb0ELj16ENS0_21wrapped_reduce_configINS_14default_configEdEEdN6thrust11hip_rocprim26transform_input_iterator_tIdNS5_6detail15normal_iteratorINS5_10device_ptrIdEEEEZ4mainEUldE_EEPddNS5_4plusIdEEEEvT4_mT5_T6_T7_
		.amdhsa_group_segment_fixed_size 128
		.amdhsa_private_segment_fixed_size 0
		.amdhsa_kernarg_size 44
		.amdhsa_user_sgpr_count 15
		.amdhsa_user_sgpr_dispatch_ptr 0
		.amdhsa_user_sgpr_queue_ptr 0
		.amdhsa_user_sgpr_kernarg_segment_ptr 1
		.amdhsa_user_sgpr_dispatch_id 0
		.amdhsa_user_sgpr_private_segment_size 0
		.amdhsa_wavefront_size32 1
		.amdhsa_uses_dynamic_stack 0
		.amdhsa_enable_private_segment 0
		.amdhsa_system_sgpr_workgroup_id_x 1
		.amdhsa_system_sgpr_workgroup_id_y 0
		.amdhsa_system_sgpr_workgroup_id_z 0
		.amdhsa_system_sgpr_workgroup_info 0
		.amdhsa_system_vgpr_workitem_id 0
		.amdhsa_next_free_vgpr 8
		.amdhsa_next_free_sgpr 16
		.amdhsa_reserve_vcc 1
		.amdhsa_float_round_mode_32 0
		.amdhsa_float_round_mode_16_64 0
		.amdhsa_float_denorm_mode_32 3
		.amdhsa_float_denorm_mode_16_64 3
		.amdhsa_dx10_clamp 1
		.amdhsa_ieee_mode 1
		.amdhsa_fp16_overflow 0
		.amdhsa_workgroup_processor_mode 1
		.amdhsa_memory_ordered 1
		.amdhsa_forward_progress 0
		.amdhsa_shared_vgpr_count 0
		.amdhsa_exception_fp_ieee_invalid_op 0
		.amdhsa_exception_fp_denorm_src 0
		.amdhsa_exception_fp_ieee_div_zero 0
		.amdhsa_exception_fp_ieee_overflow 0
		.amdhsa_exception_fp_ieee_underflow 0
		.amdhsa_exception_fp_ieee_inexact 0
		.amdhsa_exception_int_div_zero 0
	.end_amdhsa_kernel
	.section	.text._ZN7rocprim6detail19block_reduce_kernelILb1ELb0ELj16ENS0_21wrapped_reduce_configINS_14default_configEdEEdN6thrust11hip_rocprim26transform_input_iterator_tIdNS5_6detail15normal_iteratorINS5_10device_ptrIdEEEEZ4mainEUldE_EEPddNS5_4plusIdEEEEvT4_mT5_T6_T7_,"axG",@progbits,_ZN7rocprim6detail19block_reduce_kernelILb1ELb0ELj16ENS0_21wrapped_reduce_configINS_14default_configEdEEdN6thrust11hip_rocprim26transform_input_iterator_tIdNS5_6detail15normal_iteratorINS5_10device_ptrIdEEEEZ4mainEUldE_EEPddNS5_4plusIdEEEEvT4_mT5_T6_T7_,comdat
.Lfunc_end18:
	.size	_ZN7rocprim6detail19block_reduce_kernelILb1ELb0ELj16ENS0_21wrapped_reduce_configINS_14default_configEdEEdN6thrust11hip_rocprim26transform_input_iterator_tIdNS5_6detail15normal_iteratorINS5_10device_ptrIdEEEEZ4mainEUldE_EEPddNS5_4plusIdEEEEvT4_mT5_T6_T7_, .Lfunc_end18-_ZN7rocprim6detail19block_reduce_kernelILb1ELb0ELj16ENS0_21wrapped_reduce_configINS_14default_configEdEEdN6thrust11hip_rocprim26transform_input_iterator_tIdNS5_6detail15normal_iteratorINS5_10device_ptrIdEEEEZ4mainEUldE_EEPddNS5_4plusIdEEEEvT4_mT5_T6_T7_
                                        ; -- End function
	.section	.AMDGPU.csdata,"",@progbits
; Kernel info:
; codeLenInByte = 1488
; NumSgprs: 18
; NumVgprs: 8
; ScratchSize: 0
; MemoryBound: 0
; FloatMode: 240
; IeeeMode: 1
; LDSByteSize: 128 bytes/workgroup (compile time only)
; SGPRBlocks: 2
; VGPRBlocks: 0
; NumSGPRsForWavesPerEU: 18
; NumVGPRsForWavesPerEU: 8
; Occupancy: 16
; WaveLimiterHint : 0
; COMPUTE_PGM_RSRC2:SCRATCH_EN: 0
; COMPUTE_PGM_RSRC2:USER_SGPR: 15
; COMPUTE_PGM_RSRC2:TRAP_HANDLER: 0
; COMPUTE_PGM_RSRC2:TGID_X_EN: 1
; COMPUTE_PGM_RSRC2:TGID_Y_EN: 0
; COMPUTE_PGM_RSRC2:TGID_Z_EN: 0
; COMPUTE_PGM_RSRC2:TIDIG_COMP_CNT: 0
	.section	.text._ZN7rocprim6detail19block_reduce_kernelILb1ELb0ELj8ENS0_21wrapped_reduce_configINS_14default_configEdEEdN6thrust11hip_rocprim26transform_input_iterator_tIdNS5_6detail15normal_iteratorINS5_10device_ptrIdEEEEZ4mainEUldE_EEPddNS5_4plusIdEEEEvT4_mT5_T6_T7_,"axG",@progbits,_ZN7rocprim6detail19block_reduce_kernelILb1ELb0ELj8ENS0_21wrapped_reduce_configINS_14default_configEdEEdN6thrust11hip_rocprim26transform_input_iterator_tIdNS5_6detail15normal_iteratorINS5_10device_ptrIdEEEEZ4mainEUldE_EEPddNS5_4plusIdEEEEvT4_mT5_T6_T7_,comdat
	.globl	_ZN7rocprim6detail19block_reduce_kernelILb1ELb0ELj8ENS0_21wrapped_reduce_configINS_14default_configEdEEdN6thrust11hip_rocprim26transform_input_iterator_tIdNS5_6detail15normal_iteratorINS5_10device_ptrIdEEEEZ4mainEUldE_EEPddNS5_4plusIdEEEEvT4_mT5_T6_T7_ ; -- Begin function _ZN7rocprim6detail19block_reduce_kernelILb1ELb0ELj8ENS0_21wrapped_reduce_configINS_14default_configEdEEdN6thrust11hip_rocprim26transform_input_iterator_tIdNS5_6detail15normal_iteratorINS5_10device_ptrIdEEEEZ4mainEUldE_EEPddNS5_4plusIdEEEEvT4_mT5_T6_T7_
	.p2align	8
	.type	_ZN7rocprim6detail19block_reduce_kernelILb1ELb0ELj8ENS0_21wrapped_reduce_configINS_14default_configEdEEdN6thrust11hip_rocprim26transform_input_iterator_tIdNS5_6detail15normal_iteratorINS5_10device_ptrIdEEEEZ4mainEUldE_EEPddNS5_4plusIdEEEEvT4_mT5_T6_T7_,@function
_ZN7rocprim6detail19block_reduce_kernelILb1ELb0ELj8ENS0_21wrapped_reduce_configINS_14default_configEdEEdN6thrust11hip_rocprim26transform_input_iterator_tIdNS5_6detail15normal_iteratorINS5_10device_ptrIdEEEEZ4mainEUldE_EEPddNS5_4plusIdEEEEvT4_mT5_T6_T7_: ; @_ZN7rocprim6detail19block_reduce_kernelILb1ELb0ELj8ENS0_21wrapped_reduce_configINS_14default_configEdEEdN6thrust11hip_rocprim26transform_input_iterator_tIdNS5_6detail15normal_iteratorINS5_10device_ptrIdEEEEZ4mainEUldE_EEPddNS5_4plusIdEEEEvT4_mT5_T6_T7_
; %bb.0:
	s_clause 0x2
	s_load_b128 s[4:7], s[0:1], 0x10
	s_load_b64 s[8:9], s[0:1], 0x0
	s_load_b64 s[0:1], s[0:1], 0x20
	s_mov_b32 s11, 0
	v_mbcnt_lo_u32_b32 v5, -1, 0
	s_mov_b32 s2, s15
	s_mov_b32 s3, s11
	s_lshl_b32 s10, s15, 8
	s_waitcnt lgkmcnt(0)
	s_lshr_b64 s[12:13], s[4:5], 8
	s_delay_alu instid0(SALU_CYCLE_1)
	s_cmp_lg_u64 s[12:13], s[2:3]
	s_cbranch_scc0 .LBB19_6
; %bb.1:
	s_lshl_b64 s[12:13], s[10:11], 3
	v_lshlrev_b32_e32 v1, 3, v0
	s_add_u32 s12, s8, s12
	s_addc_u32 s13, s9, s13
	global_load_b64 v[1:2], v1, s[12:13]
	s_mov_b32 s12, exec_lo
	s_waitcnt vmcnt(0)
	v_and_b32_e32 v4, 0x7fffffff, v2
	v_mov_b32_dpp v3, v1 quad_perm:[1,0,3,2] row_mask:0xf bank_mask:0xf
	s_delay_alu instid0(VALU_DEP_2) | instskip(NEXT) | instid1(VALU_DEP_1)
	v_mov_b32_dpp v4, v4 quad_perm:[1,0,3,2] row_mask:0xf bank_mask:0xf
	v_add_f64 v[1:2], |v[1:2]|, v[3:4]
	s_delay_alu instid0(VALU_DEP_1) | instskip(NEXT) | instid1(VALU_DEP_2)
	v_mov_b32_dpp v3, v1 quad_perm:[2,3,0,1] row_mask:0xf bank_mask:0xf
	v_mov_b32_dpp v4, v2 quad_perm:[2,3,0,1] row_mask:0xf bank_mask:0xf
	s_delay_alu instid0(VALU_DEP_1) | instskip(NEXT) | instid1(VALU_DEP_1)
	v_add_f64 v[1:2], v[1:2], v[3:4]
	v_mov_b32_dpp v3, v1 row_ror:4 row_mask:0xf bank_mask:0xf
	s_delay_alu instid0(VALU_DEP_2) | instskip(NEXT) | instid1(VALU_DEP_1)
	v_mov_b32_dpp v4, v2 row_ror:4 row_mask:0xf bank_mask:0xf
	v_add_f64 v[1:2], v[1:2], v[3:4]
	s_delay_alu instid0(VALU_DEP_1) | instskip(NEXT) | instid1(VALU_DEP_2)
	v_mov_b32_dpp v3, v1 row_ror:8 row_mask:0xf bank_mask:0xf
	v_mov_b32_dpp v4, v2 row_ror:8 row_mask:0xf bank_mask:0xf
	s_delay_alu instid0(VALU_DEP_1)
	v_add_f64 v[1:2], v[1:2], v[3:4]
	ds_swizzle_b32 v3, v1 offset:swizzle(BROADCAST,32,15)
	ds_swizzle_b32 v4, v2 offset:swizzle(BROADCAST,32,15)
	s_waitcnt lgkmcnt(0)
	v_add_f64 v[1:2], v[1:2], v[3:4]
	v_mov_b32_e32 v3, 0
	ds_bpermute_b32 v1, v3, v1 offset:124
	ds_bpermute_b32 v2, v3, v2 offset:124
	v_cmpx_eq_u32_e32 0, v5
	s_cbranch_execz .LBB19_3
; %bb.2:
	v_lshrrev_b32_e32 v3, 2, v0
	s_delay_alu instid0(VALU_DEP_1)
	v_and_b32_e32 v3, 56, v3
	s_waitcnt lgkmcnt(0)
	ds_store_b64 v3, v[1:2]
.LBB19_3:
	s_or_b32 exec_lo, exec_lo, s12
	s_delay_alu instid0(SALU_CYCLE_1)
	s_mov_b32 s12, exec_lo
	s_waitcnt lgkmcnt(0)
	s_barrier
	buffer_gl0_inv
	v_cmpx_gt_u32_e32 32, v0
	s_cbranch_execz .LBB19_5
; %bb.4:
	v_and_b32_e32 v6, 7, v5
	s_delay_alu instid0(VALU_DEP_1) | instskip(SKIP_4) | instid1(VALU_DEP_2)
	v_lshlrev_b32_e32 v1, 3, v6
	v_cmp_ne_u32_e32 vcc_lo, 7, v6
	ds_load_b64 v[1:2], v1
	v_add_co_ci_u32_e32 v3, vcc_lo, 0, v5, vcc_lo
	v_cmp_gt_u32_e32 vcc_lo, 6, v6
	v_lshlrev_b32_e32 v4, 2, v3
	s_waitcnt lgkmcnt(0)
	ds_bpermute_b32 v3, v4, v1
	ds_bpermute_b32 v4, v4, v2
	s_waitcnt lgkmcnt(0)
	v_add_f64 v[1:2], v[1:2], v[3:4]
	v_cndmask_b32_e64 v3, 0, 1, vcc_lo
	v_cmp_gt_u32_e32 vcc_lo, 4, v6
	s_delay_alu instid0(VALU_DEP_2) | instskip(NEXT) | instid1(VALU_DEP_1)
	v_lshlrev_b32_e32 v3, 1, v3
	v_add_lshl_u32 v4, v3, v5, 2
	ds_bpermute_b32 v3, v4, v1
	ds_bpermute_b32 v4, v4, v2
	s_waitcnt lgkmcnt(0)
	v_add_f64 v[1:2], v[1:2], v[3:4]
	v_cndmask_b32_e64 v3, 0, 1, vcc_lo
	s_delay_alu instid0(VALU_DEP_1) | instskip(NEXT) | instid1(VALU_DEP_1)
	v_lshlrev_b32_e32 v3, 2, v3
	v_add_lshl_u32 v4, v3, v5, 2
	ds_bpermute_b32 v3, v4, v1
	ds_bpermute_b32 v4, v4, v2
	s_waitcnt lgkmcnt(0)
	v_add_f64 v[1:2], v[1:2], v[3:4]
.LBB19_5:
	s_or_b32 exec_lo, exec_lo, s12
	s_branch .LBB19_30
.LBB19_6:
                                        ; implicit-def: $vgpr1_vgpr2
	s_cbranch_execz .LBB19_30
; %bb.7:
	s_sub_i32 s12, s4, s10
	s_mov_b32 s13, exec_lo
                                        ; implicit-def: $vgpr1_vgpr2
	v_cmpx_gt_u32_e64 s12, v0
	s_cbranch_execz .LBB19_9
; %bb.8:
	s_lshl_b64 s[10:11], s[10:11], 3
	v_lshlrev_b32_e32 v1, 3, v0
	s_add_u32 s8, s8, s10
	s_addc_u32 s9, s9, s11
	global_load_b64 v[1:2], v1, s[8:9]
	s_waitcnt vmcnt(0)
	v_and_b32_e32 v2, 0x7fffffff, v2
.LBB19_9:
	s_or_b32 exec_lo, exec_lo, s13
	v_cmp_ne_u32_e32 vcc_lo, 31, v5
	v_and_b32_e32 v6, 0xe0, v0
	s_min_u32 s8, s12, 0x100
	v_add_nc_u32_e32 v7, 1, v5
	s_mov_b32 s9, exec_lo
	v_add_co_ci_u32_e32 v3, vcc_lo, 0, v5, vcc_lo
	v_sub_nc_u32_e64 v6, s8, v6 clamp
	s_delay_alu instid0(VALU_DEP_2)
	v_lshlrev_b32_e32 v4, 2, v3
	ds_bpermute_b32 v3, v4, v1
	ds_bpermute_b32 v4, v4, v2
	v_cmpx_lt_u32_e64 v7, v6
	s_cbranch_execz .LBB19_11
; %bb.10:
	s_waitcnt lgkmcnt(0)
	v_add_f64 v[1:2], v[1:2], v[3:4]
.LBB19_11:
	s_or_b32 exec_lo, exec_lo, s9
	v_cmp_gt_u32_e32 vcc_lo, 30, v5
	v_add_nc_u32_e32 v7, 2, v5
	s_mov_b32 s9, exec_lo
	s_waitcnt lgkmcnt(1)
	v_cndmask_b32_e64 v3, 0, 1, vcc_lo
	s_delay_alu instid0(VALU_DEP_1) | instskip(SKIP_1) | instid1(VALU_DEP_1)
	v_lshlrev_b32_e32 v3, 1, v3
	s_waitcnt lgkmcnt(0)
	v_add_lshl_u32 v4, v3, v5, 2
	ds_bpermute_b32 v3, v4, v1
	ds_bpermute_b32 v4, v4, v2
	v_cmpx_lt_u32_e64 v7, v6
	s_cbranch_execz .LBB19_13
; %bb.12:
	s_waitcnt lgkmcnt(0)
	v_add_f64 v[1:2], v[1:2], v[3:4]
.LBB19_13:
	s_or_b32 exec_lo, exec_lo, s9
	v_cmp_gt_u32_e32 vcc_lo, 28, v5
	v_add_nc_u32_e32 v7, 4, v5
	s_mov_b32 s9, exec_lo
	s_waitcnt lgkmcnt(1)
	v_cndmask_b32_e64 v3, 0, 1, vcc_lo
	s_delay_alu instid0(VALU_DEP_1) | instskip(SKIP_1) | instid1(VALU_DEP_1)
	v_lshlrev_b32_e32 v3, 2, v3
	s_waitcnt lgkmcnt(0)
	v_add_lshl_u32 v4, v3, v5, 2
	;; [unrolled: 18-line block ×4, first 2 shown]
	ds_bpermute_b32 v3, v4, v1
	ds_bpermute_b32 v4, v4, v2
	v_cmpx_lt_u32_e64 v7, v6
	s_cbranch_execz .LBB19_19
; %bb.18:
	s_waitcnt lgkmcnt(0)
	v_add_f64 v[1:2], v[1:2], v[3:4]
.LBB19_19:
	s_or_b32 exec_lo, exec_lo, s9
	s_delay_alu instid0(SALU_CYCLE_1)
	s_mov_b32 s9, exec_lo
	v_cmpx_eq_u32_e32 0, v5
	s_cbranch_execz .LBB19_21
; %bb.20:
	s_waitcnt lgkmcnt(1)
	v_lshrrev_b32_e32 v3, 2, v0
	s_delay_alu instid0(VALU_DEP_1)
	v_and_b32_e32 v3, 56, v3
	ds_store_b64 v3, v[1:2] offset:64
.LBB19_21:
	s_or_b32 exec_lo, exec_lo, s9
	s_delay_alu instid0(SALU_CYCLE_1)
	s_mov_b32 s9, exec_lo
	s_waitcnt lgkmcnt(0)
	s_barrier
	buffer_gl0_inv
	v_cmpx_gt_u32_e32 8, v0
	s_cbranch_execz .LBB19_29
; %bb.22:
	v_lshlrev_b32_e32 v1, 3, v5
	v_and_b32_e32 v6, 7, v5
	s_add_i32 s8, s8, 31
	s_mov_b32 s10, exec_lo
	s_lshr_b32 s8, s8, 5
	ds_load_b64 v[1:2], v1 offset:64
	v_cmp_ne_u32_e32 vcc_lo, 7, v6
	v_add_nc_u32_e32 v7, 1, v6
	v_add_co_ci_u32_e32 v3, vcc_lo, 0, v5, vcc_lo
	s_delay_alu instid0(VALU_DEP_1)
	v_lshlrev_b32_e32 v4, 2, v3
	s_waitcnt lgkmcnt(0)
	ds_bpermute_b32 v3, v4, v1
	ds_bpermute_b32 v4, v4, v2
	v_cmpx_gt_u32_e64 s8, v7
	s_cbranch_execz .LBB19_24
; %bb.23:
	s_waitcnt lgkmcnt(0)
	v_add_f64 v[1:2], v[1:2], v[3:4]
.LBB19_24:
	s_or_b32 exec_lo, exec_lo, s10
	v_cmp_gt_u32_e32 vcc_lo, 6, v6
	v_add_nc_u32_e32 v7, 2, v6
	s_mov_b32 s10, exec_lo
	s_waitcnt lgkmcnt(1)
	v_cndmask_b32_e64 v3, 0, 1, vcc_lo
	s_delay_alu instid0(VALU_DEP_1) | instskip(SKIP_1) | instid1(VALU_DEP_1)
	v_lshlrev_b32_e32 v3, 1, v3
	s_waitcnt lgkmcnt(0)
	v_add_lshl_u32 v4, v3, v5, 2
	ds_bpermute_b32 v3, v4, v1
	ds_bpermute_b32 v4, v4, v2
	v_cmpx_gt_u32_e64 s8, v7
	s_cbranch_execz .LBB19_26
; %bb.25:
	s_waitcnt lgkmcnt(0)
	v_add_f64 v[1:2], v[1:2], v[3:4]
.LBB19_26:
	s_or_b32 exec_lo, exec_lo, s10
	v_cmp_gt_u32_e32 vcc_lo, 4, v6
	s_waitcnt lgkmcnt(1)
	v_cndmask_b32_e64 v3, 0, 1, vcc_lo
	s_delay_alu instid0(VALU_DEP_1) | instskip(SKIP_1) | instid1(VALU_DEP_1)
	v_lshlrev_b32_e32 v3, 2, v3
	s_waitcnt lgkmcnt(0)
	v_add_lshl_u32 v4, v3, v5, 2
	v_add_nc_u32_e32 v5, 4, v6
	ds_bpermute_b32 v3, v4, v1
	ds_bpermute_b32 v4, v4, v2
	v_cmp_gt_u32_e32 vcc_lo, s8, v5
	s_and_saveexec_b32 s8, vcc_lo
	s_cbranch_execz .LBB19_28
; %bb.27:
	s_waitcnt lgkmcnt(0)
	v_add_f64 v[1:2], v[1:2], v[3:4]
.LBB19_28:
	s_or_b32 exec_lo, exec_lo, s8
.LBB19_29:
	s_delay_alu instid0(SALU_CYCLE_1)
	s_or_b32 exec_lo, exec_lo, s9
.LBB19_30:
	s_delay_alu instid0(SALU_CYCLE_1)
	s_mov_b32 s8, exec_lo
	v_cmpx_eq_u32_e32 0, v0
	s_cbranch_execz .LBB19_32
; %bb.31:
	s_delay_alu instid0(VALU_DEP_2)
	v_add_f64 v[0:1], v[1:2], s[0:1]
	s_lshl_b64 s[2:3], s[2:3], 3
	v_mov_b32_e32 v2, 0
	s_add_u32 s2, s6, s2
	s_addc_u32 s3, s7, s3
	s_cmp_eq_u64 s[4:5], 0
	s_cselect_b32 s4, -1, 0
	s_delay_alu instid0(VALU_DEP_2) | instid1(SALU_CYCLE_1)
	v_cndmask_b32_e64 v1, v1, s1, s4
	s_delay_alu instid0(VALU_DEP_3)
	v_cndmask_b32_e64 v0, v0, s0, s4
	global_store_b64 v2, v[0:1], s[2:3]
.LBB19_32:
	s_nop 0
	s_sendmsg sendmsg(MSG_DEALLOC_VGPRS)
	s_endpgm
	.section	.rodata,"a",@progbits
	.p2align	6, 0x0
	.amdhsa_kernel _ZN7rocprim6detail19block_reduce_kernelILb1ELb0ELj8ENS0_21wrapped_reduce_configINS_14default_configEdEEdN6thrust11hip_rocprim26transform_input_iterator_tIdNS5_6detail15normal_iteratorINS5_10device_ptrIdEEEEZ4mainEUldE_EEPddNS5_4plusIdEEEEvT4_mT5_T6_T7_
		.amdhsa_group_segment_fixed_size 128
		.amdhsa_private_segment_fixed_size 0
		.amdhsa_kernarg_size 44
		.amdhsa_user_sgpr_count 15
		.amdhsa_user_sgpr_dispatch_ptr 0
		.amdhsa_user_sgpr_queue_ptr 0
		.amdhsa_user_sgpr_kernarg_segment_ptr 1
		.amdhsa_user_sgpr_dispatch_id 0
		.amdhsa_user_sgpr_private_segment_size 0
		.amdhsa_wavefront_size32 1
		.amdhsa_uses_dynamic_stack 0
		.amdhsa_enable_private_segment 0
		.amdhsa_system_sgpr_workgroup_id_x 1
		.amdhsa_system_sgpr_workgroup_id_y 0
		.amdhsa_system_sgpr_workgroup_id_z 0
		.amdhsa_system_sgpr_workgroup_info 0
		.amdhsa_system_vgpr_workitem_id 0
		.amdhsa_next_free_vgpr 8
		.amdhsa_next_free_sgpr 16
		.amdhsa_reserve_vcc 1
		.amdhsa_float_round_mode_32 0
		.amdhsa_float_round_mode_16_64 0
		.amdhsa_float_denorm_mode_32 3
		.amdhsa_float_denorm_mode_16_64 3
		.amdhsa_dx10_clamp 1
		.amdhsa_ieee_mode 1
		.amdhsa_fp16_overflow 0
		.amdhsa_workgroup_processor_mode 1
		.amdhsa_memory_ordered 1
		.amdhsa_forward_progress 0
		.amdhsa_shared_vgpr_count 0
		.amdhsa_exception_fp_ieee_invalid_op 0
		.amdhsa_exception_fp_denorm_src 0
		.amdhsa_exception_fp_ieee_div_zero 0
		.amdhsa_exception_fp_ieee_overflow 0
		.amdhsa_exception_fp_ieee_underflow 0
		.amdhsa_exception_fp_ieee_inexact 0
		.amdhsa_exception_int_div_zero 0
	.end_amdhsa_kernel
	.section	.text._ZN7rocprim6detail19block_reduce_kernelILb1ELb0ELj8ENS0_21wrapped_reduce_configINS_14default_configEdEEdN6thrust11hip_rocprim26transform_input_iterator_tIdNS5_6detail15normal_iteratorINS5_10device_ptrIdEEEEZ4mainEUldE_EEPddNS5_4plusIdEEEEvT4_mT5_T6_T7_,"axG",@progbits,_ZN7rocprim6detail19block_reduce_kernelILb1ELb0ELj8ENS0_21wrapped_reduce_configINS_14default_configEdEEdN6thrust11hip_rocprim26transform_input_iterator_tIdNS5_6detail15normal_iteratorINS5_10device_ptrIdEEEEZ4mainEUldE_EEPddNS5_4plusIdEEEEvT4_mT5_T6_T7_,comdat
.Lfunc_end19:
	.size	_ZN7rocprim6detail19block_reduce_kernelILb1ELb0ELj8ENS0_21wrapped_reduce_configINS_14default_configEdEEdN6thrust11hip_rocprim26transform_input_iterator_tIdNS5_6detail15normal_iteratorINS5_10device_ptrIdEEEEZ4mainEUldE_EEPddNS5_4plusIdEEEEvT4_mT5_T6_T7_, .Lfunc_end19-_ZN7rocprim6detail19block_reduce_kernelILb1ELb0ELj8ENS0_21wrapped_reduce_configINS_14default_configEdEEdN6thrust11hip_rocprim26transform_input_iterator_tIdNS5_6detail15normal_iteratorINS5_10device_ptrIdEEEEZ4mainEUldE_EEPddNS5_4plusIdEEEEvT4_mT5_T6_T7_
                                        ; -- End function
	.section	.AMDGPU.csdata,"",@progbits
; Kernel info:
; codeLenInByte = 1488
; NumSgprs: 18
; NumVgprs: 8
; ScratchSize: 0
; MemoryBound: 0
; FloatMode: 240
; IeeeMode: 1
; LDSByteSize: 128 bytes/workgroup (compile time only)
; SGPRBlocks: 2
; VGPRBlocks: 0
; NumSGPRsForWavesPerEU: 18
; NumVGPRsForWavesPerEU: 8
; Occupancy: 16
; WaveLimiterHint : 0
; COMPUTE_PGM_RSRC2:SCRATCH_EN: 0
; COMPUTE_PGM_RSRC2:USER_SGPR: 15
; COMPUTE_PGM_RSRC2:TRAP_HANDLER: 0
; COMPUTE_PGM_RSRC2:TGID_X_EN: 1
; COMPUTE_PGM_RSRC2:TGID_Y_EN: 0
; COMPUTE_PGM_RSRC2:TGID_Z_EN: 0
; COMPUTE_PGM_RSRC2:TIDIG_COMP_CNT: 0
	.section	.text._ZN7rocprim6detail19block_reduce_kernelILb1ELb0ELj4ENS0_21wrapped_reduce_configINS_14default_configEdEEdN6thrust11hip_rocprim26transform_input_iterator_tIdNS5_6detail15normal_iteratorINS5_10device_ptrIdEEEEZ4mainEUldE_EEPddNS5_4plusIdEEEEvT4_mT5_T6_T7_,"axG",@progbits,_ZN7rocprim6detail19block_reduce_kernelILb1ELb0ELj4ENS0_21wrapped_reduce_configINS_14default_configEdEEdN6thrust11hip_rocprim26transform_input_iterator_tIdNS5_6detail15normal_iteratorINS5_10device_ptrIdEEEEZ4mainEUldE_EEPddNS5_4plusIdEEEEvT4_mT5_T6_T7_,comdat
	.globl	_ZN7rocprim6detail19block_reduce_kernelILb1ELb0ELj4ENS0_21wrapped_reduce_configINS_14default_configEdEEdN6thrust11hip_rocprim26transform_input_iterator_tIdNS5_6detail15normal_iteratorINS5_10device_ptrIdEEEEZ4mainEUldE_EEPddNS5_4plusIdEEEEvT4_mT5_T6_T7_ ; -- Begin function _ZN7rocprim6detail19block_reduce_kernelILb1ELb0ELj4ENS0_21wrapped_reduce_configINS_14default_configEdEEdN6thrust11hip_rocprim26transform_input_iterator_tIdNS5_6detail15normal_iteratorINS5_10device_ptrIdEEEEZ4mainEUldE_EEPddNS5_4plusIdEEEEvT4_mT5_T6_T7_
	.p2align	8
	.type	_ZN7rocprim6detail19block_reduce_kernelILb1ELb0ELj4ENS0_21wrapped_reduce_configINS_14default_configEdEEdN6thrust11hip_rocprim26transform_input_iterator_tIdNS5_6detail15normal_iteratorINS5_10device_ptrIdEEEEZ4mainEUldE_EEPddNS5_4plusIdEEEEvT4_mT5_T6_T7_,@function
_ZN7rocprim6detail19block_reduce_kernelILb1ELb0ELj4ENS0_21wrapped_reduce_configINS_14default_configEdEEdN6thrust11hip_rocprim26transform_input_iterator_tIdNS5_6detail15normal_iteratorINS5_10device_ptrIdEEEEZ4mainEUldE_EEPddNS5_4plusIdEEEEvT4_mT5_T6_T7_: ; @_ZN7rocprim6detail19block_reduce_kernelILb1ELb0ELj4ENS0_21wrapped_reduce_configINS_14default_configEdEEdN6thrust11hip_rocprim26transform_input_iterator_tIdNS5_6detail15normal_iteratorINS5_10device_ptrIdEEEEZ4mainEUldE_EEPddNS5_4plusIdEEEEvT4_mT5_T6_T7_
; %bb.0:
	s_clause 0x2
	s_load_b128 s[4:7], s[0:1], 0x10
	s_load_b64 s[8:9], s[0:1], 0x0
	s_load_b64 s[0:1], s[0:1], 0x20
	s_mov_b32 s11, 0
	v_mbcnt_lo_u32_b32 v5, -1, 0
	s_mov_b32 s2, s15
	s_mov_b32 s3, s11
	s_lshl_b32 s10, s15, 8
	s_waitcnt lgkmcnt(0)
	s_lshr_b64 s[12:13], s[4:5], 8
	s_delay_alu instid0(SALU_CYCLE_1)
	s_cmp_lg_u64 s[12:13], s[2:3]
	s_cbranch_scc0 .LBB20_6
; %bb.1:
	s_lshl_b64 s[12:13], s[10:11], 3
	v_lshlrev_b32_e32 v1, 3, v0
	s_add_u32 s12, s8, s12
	s_addc_u32 s13, s9, s13
	global_load_b64 v[1:2], v1, s[12:13]
	s_mov_b32 s12, exec_lo
	s_waitcnt vmcnt(0)
	v_and_b32_e32 v4, 0x7fffffff, v2
	v_mov_b32_dpp v3, v1 quad_perm:[1,0,3,2] row_mask:0xf bank_mask:0xf
	s_delay_alu instid0(VALU_DEP_2) | instskip(NEXT) | instid1(VALU_DEP_1)
	v_mov_b32_dpp v4, v4 quad_perm:[1,0,3,2] row_mask:0xf bank_mask:0xf
	v_add_f64 v[1:2], |v[1:2]|, v[3:4]
	s_delay_alu instid0(VALU_DEP_1) | instskip(NEXT) | instid1(VALU_DEP_2)
	v_mov_b32_dpp v3, v1 quad_perm:[2,3,0,1] row_mask:0xf bank_mask:0xf
	v_mov_b32_dpp v4, v2 quad_perm:[2,3,0,1] row_mask:0xf bank_mask:0xf
	s_delay_alu instid0(VALU_DEP_1) | instskip(NEXT) | instid1(VALU_DEP_1)
	v_add_f64 v[1:2], v[1:2], v[3:4]
	v_mov_b32_dpp v3, v1 row_ror:4 row_mask:0xf bank_mask:0xf
	s_delay_alu instid0(VALU_DEP_2) | instskip(NEXT) | instid1(VALU_DEP_1)
	v_mov_b32_dpp v4, v2 row_ror:4 row_mask:0xf bank_mask:0xf
	v_add_f64 v[1:2], v[1:2], v[3:4]
	s_delay_alu instid0(VALU_DEP_1) | instskip(NEXT) | instid1(VALU_DEP_2)
	v_mov_b32_dpp v3, v1 row_ror:8 row_mask:0xf bank_mask:0xf
	v_mov_b32_dpp v4, v2 row_ror:8 row_mask:0xf bank_mask:0xf
	s_delay_alu instid0(VALU_DEP_1)
	v_add_f64 v[1:2], v[1:2], v[3:4]
	ds_swizzle_b32 v3, v1 offset:swizzle(BROADCAST,32,15)
	ds_swizzle_b32 v4, v2 offset:swizzle(BROADCAST,32,15)
	s_waitcnt lgkmcnt(0)
	v_add_f64 v[1:2], v[1:2], v[3:4]
	v_mov_b32_e32 v3, 0
	ds_bpermute_b32 v1, v3, v1 offset:124
	ds_bpermute_b32 v2, v3, v2 offset:124
	v_cmpx_eq_u32_e32 0, v5
	s_cbranch_execz .LBB20_3
; %bb.2:
	v_lshrrev_b32_e32 v3, 2, v0
	s_delay_alu instid0(VALU_DEP_1)
	v_and_b32_e32 v3, 56, v3
	s_waitcnt lgkmcnt(0)
	ds_store_b64 v3, v[1:2]
.LBB20_3:
	s_or_b32 exec_lo, exec_lo, s12
	s_delay_alu instid0(SALU_CYCLE_1)
	s_mov_b32 s12, exec_lo
	s_waitcnt lgkmcnt(0)
	s_barrier
	buffer_gl0_inv
	v_cmpx_gt_u32_e32 32, v0
	s_cbranch_execz .LBB20_5
; %bb.4:
	v_and_b32_e32 v6, 7, v5
	s_delay_alu instid0(VALU_DEP_1) | instskip(SKIP_4) | instid1(VALU_DEP_2)
	v_lshlrev_b32_e32 v1, 3, v6
	v_cmp_ne_u32_e32 vcc_lo, 7, v6
	ds_load_b64 v[1:2], v1
	v_add_co_ci_u32_e32 v3, vcc_lo, 0, v5, vcc_lo
	v_cmp_gt_u32_e32 vcc_lo, 6, v6
	v_lshlrev_b32_e32 v4, 2, v3
	s_waitcnt lgkmcnt(0)
	ds_bpermute_b32 v3, v4, v1
	ds_bpermute_b32 v4, v4, v2
	s_waitcnt lgkmcnt(0)
	v_add_f64 v[1:2], v[1:2], v[3:4]
	v_cndmask_b32_e64 v3, 0, 1, vcc_lo
	v_cmp_gt_u32_e32 vcc_lo, 4, v6
	s_delay_alu instid0(VALU_DEP_2) | instskip(NEXT) | instid1(VALU_DEP_1)
	v_lshlrev_b32_e32 v3, 1, v3
	v_add_lshl_u32 v4, v3, v5, 2
	ds_bpermute_b32 v3, v4, v1
	ds_bpermute_b32 v4, v4, v2
	s_waitcnt lgkmcnt(0)
	v_add_f64 v[1:2], v[1:2], v[3:4]
	v_cndmask_b32_e64 v3, 0, 1, vcc_lo
	s_delay_alu instid0(VALU_DEP_1) | instskip(NEXT) | instid1(VALU_DEP_1)
	v_lshlrev_b32_e32 v3, 2, v3
	v_add_lshl_u32 v4, v3, v5, 2
	ds_bpermute_b32 v3, v4, v1
	ds_bpermute_b32 v4, v4, v2
	s_waitcnt lgkmcnt(0)
	v_add_f64 v[1:2], v[1:2], v[3:4]
.LBB20_5:
	s_or_b32 exec_lo, exec_lo, s12
	s_branch .LBB20_30
.LBB20_6:
                                        ; implicit-def: $vgpr1_vgpr2
	s_cbranch_execz .LBB20_30
; %bb.7:
	s_sub_i32 s12, s4, s10
	s_mov_b32 s13, exec_lo
                                        ; implicit-def: $vgpr1_vgpr2
	v_cmpx_gt_u32_e64 s12, v0
	s_cbranch_execz .LBB20_9
; %bb.8:
	s_lshl_b64 s[10:11], s[10:11], 3
	v_lshlrev_b32_e32 v1, 3, v0
	s_add_u32 s8, s8, s10
	s_addc_u32 s9, s9, s11
	global_load_b64 v[1:2], v1, s[8:9]
	s_waitcnt vmcnt(0)
	v_and_b32_e32 v2, 0x7fffffff, v2
.LBB20_9:
	s_or_b32 exec_lo, exec_lo, s13
	v_cmp_ne_u32_e32 vcc_lo, 31, v5
	v_and_b32_e32 v6, 0xe0, v0
	s_min_u32 s8, s12, 0x100
	v_add_nc_u32_e32 v7, 1, v5
	s_mov_b32 s9, exec_lo
	v_add_co_ci_u32_e32 v3, vcc_lo, 0, v5, vcc_lo
	v_sub_nc_u32_e64 v6, s8, v6 clamp
	s_delay_alu instid0(VALU_DEP_2)
	v_lshlrev_b32_e32 v4, 2, v3
	ds_bpermute_b32 v3, v4, v1
	ds_bpermute_b32 v4, v4, v2
	v_cmpx_lt_u32_e64 v7, v6
	s_cbranch_execz .LBB20_11
; %bb.10:
	s_waitcnt lgkmcnt(0)
	v_add_f64 v[1:2], v[1:2], v[3:4]
.LBB20_11:
	s_or_b32 exec_lo, exec_lo, s9
	v_cmp_gt_u32_e32 vcc_lo, 30, v5
	v_add_nc_u32_e32 v7, 2, v5
	s_mov_b32 s9, exec_lo
	s_waitcnt lgkmcnt(1)
	v_cndmask_b32_e64 v3, 0, 1, vcc_lo
	s_delay_alu instid0(VALU_DEP_1) | instskip(SKIP_1) | instid1(VALU_DEP_1)
	v_lshlrev_b32_e32 v3, 1, v3
	s_waitcnt lgkmcnt(0)
	v_add_lshl_u32 v4, v3, v5, 2
	ds_bpermute_b32 v3, v4, v1
	ds_bpermute_b32 v4, v4, v2
	v_cmpx_lt_u32_e64 v7, v6
	s_cbranch_execz .LBB20_13
; %bb.12:
	s_waitcnt lgkmcnt(0)
	v_add_f64 v[1:2], v[1:2], v[3:4]
.LBB20_13:
	s_or_b32 exec_lo, exec_lo, s9
	v_cmp_gt_u32_e32 vcc_lo, 28, v5
	v_add_nc_u32_e32 v7, 4, v5
	s_mov_b32 s9, exec_lo
	s_waitcnt lgkmcnt(1)
	v_cndmask_b32_e64 v3, 0, 1, vcc_lo
	s_delay_alu instid0(VALU_DEP_1) | instskip(SKIP_1) | instid1(VALU_DEP_1)
	v_lshlrev_b32_e32 v3, 2, v3
	s_waitcnt lgkmcnt(0)
	v_add_lshl_u32 v4, v3, v5, 2
	;; [unrolled: 18-line block ×4, first 2 shown]
	ds_bpermute_b32 v3, v4, v1
	ds_bpermute_b32 v4, v4, v2
	v_cmpx_lt_u32_e64 v7, v6
	s_cbranch_execz .LBB20_19
; %bb.18:
	s_waitcnt lgkmcnt(0)
	v_add_f64 v[1:2], v[1:2], v[3:4]
.LBB20_19:
	s_or_b32 exec_lo, exec_lo, s9
	s_delay_alu instid0(SALU_CYCLE_1)
	s_mov_b32 s9, exec_lo
	v_cmpx_eq_u32_e32 0, v5
	s_cbranch_execz .LBB20_21
; %bb.20:
	s_waitcnt lgkmcnt(1)
	v_lshrrev_b32_e32 v3, 2, v0
	s_delay_alu instid0(VALU_DEP_1)
	v_and_b32_e32 v3, 56, v3
	ds_store_b64 v3, v[1:2] offset:64
.LBB20_21:
	s_or_b32 exec_lo, exec_lo, s9
	s_delay_alu instid0(SALU_CYCLE_1)
	s_mov_b32 s9, exec_lo
	s_waitcnt lgkmcnt(0)
	s_barrier
	buffer_gl0_inv
	v_cmpx_gt_u32_e32 8, v0
	s_cbranch_execz .LBB20_29
; %bb.22:
	v_lshlrev_b32_e32 v1, 3, v5
	v_and_b32_e32 v6, 7, v5
	s_add_i32 s8, s8, 31
	s_mov_b32 s10, exec_lo
	s_lshr_b32 s8, s8, 5
	ds_load_b64 v[1:2], v1 offset:64
	v_cmp_ne_u32_e32 vcc_lo, 7, v6
	v_add_nc_u32_e32 v7, 1, v6
	v_add_co_ci_u32_e32 v3, vcc_lo, 0, v5, vcc_lo
	s_delay_alu instid0(VALU_DEP_1)
	v_lshlrev_b32_e32 v4, 2, v3
	s_waitcnt lgkmcnt(0)
	ds_bpermute_b32 v3, v4, v1
	ds_bpermute_b32 v4, v4, v2
	v_cmpx_gt_u32_e64 s8, v7
	s_cbranch_execz .LBB20_24
; %bb.23:
	s_waitcnt lgkmcnt(0)
	v_add_f64 v[1:2], v[1:2], v[3:4]
.LBB20_24:
	s_or_b32 exec_lo, exec_lo, s10
	v_cmp_gt_u32_e32 vcc_lo, 6, v6
	v_add_nc_u32_e32 v7, 2, v6
	s_mov_b32 s10, exec_lo
	s_waitcnt lgkmcnt(1)
	v_cndmask_b32_e64 v3, 0, 1, vcc_lo
	s_delay_alu instid0(VALU_DEP_1) | instskip(SKIP_1) | instid1(VALU_DEP_1)
	v_lshlrev_b32_e32 v3, 1, v3
	s_waitcnt lgkmcnt(0)
	v_add_lshl_u32 v4, v3, v5, 2
	ds_bpermute_b32 v3, v4, v1
	ds_bpermute_b32 v4, v4, v2
	v_cmpx_gt_u32_e64 s8, v7
	s_cbranch_execz .LBB20_26
; %bb.25:
	s_waitcnt lgkmcnt(0)
	v_add_f64 v[1:2], v[1:2], v[3:4]
.LBB20_26:
	s_or_b32 exec_lo, exec_lo, s10
	v_cmp_gt_u32_e32 vcc_lo, 4, v6
	s_waitcnt lgkmcnt(1)
	v_cndmask_b32_e64 v3, 0, 1, vcc_lo
	s_delay_alu instid0(VALU_DEP_1) | instskip(SKIP_1) | instid1(VALU_DEP_1)
	v_lshlrev_b32_e32 v3, 2, v3
	s_waitcnt lgkmcnt(0)
	v_add_lshl_u32 v4, v3, v5, 2
	v_add_nc_u32_e32 v5, 4, v6
	ds_bpermute_b32 v3, v4, v1
	ds_bpermute_b32 v4, v4, v2
	v_cmp_gt_u32_e32 vcc_lo, s8, v5
	s_and_saveexec_b32 s8, vcc_lo
	s_cbranch_execz .LBB20_28
; %bb.27:
	s_waitcnt lgkmcnt(0)
	v_add_f64 v[1:2], v[1:2], v[3:4]
.LBB20_28:
	s_or_b32 exec_lo, exec_lo, s8
.LBB20_29:
	s_delay_alu instid0(SALU_CYCLE_1)
	s_or_b32 exec_lo, exec_lo, s9
.LBB20_30:
	s_delay_alu instid0(SALU_CYCLE_1)
	s_mov_b32 s8, exec_lo
	v_cmpx_eq_u32_e32 0, v0
	s_cbranch_execz .LBB20_32
; %bb.31:
	s_delay_alu instid0(VALU_DEP_2)
	v_add_f64 v[0:1], v[1:2], s[0:1]
	s_lshl_b64 s[2:3], s[2:3], 3
	v_mov_b32_e32 v2, 0
	s_add_u32 s2, s6, s2
	s_addc_u32 s3, s7, s3
	s_cmp_eq_u64 s[4:5], 0
	s_cselect_b32 s4, -1, 0
	s_delay_alu instid0(VALU_DEP_2) | instid1(SALU_CYCLE_1)
	v_cndmask_b32_e64 v1, v1, s1, s4
	s_delay_alu instid0(VALU_DEP_3)
	v_cndmask_b32_e64 v0, v0, s0, s4
	global_store_b64 v2, v[0:1], s[2:3]
.LBB20_32:
	s_nop 0
	s_sendmsg sendmsg(MSG_DEALLOC_VGPRS)
	s_endpgm
	.section	.rodata,"a",@progbits
	.p2align	6, 0x0
	.amdhsa_kernel _ZN7rocprim6detail19block_reduce_kernelILb1ELb0ELj4ENS0_21wrapped_reduce_configINS_14default_configEdEEdN6thrust11hip_rocprim26transform_input_iterator_tIdNS5_6detail15normal_iteratorINS5_10device_ptrIdEEEEZ4mainEUldE_EEPddNS5_4plusIdEEEEvT4_mT5_T6_T7_
		.amdhsa_group_segment_fixed_size 128
		.amdhsa_private_segment_fixed_size 0
		.amdhsa_kernarg_size 44
		.amdhsa_user_sgpr_count 15
		.amdhsa_user_sgpr_dispatch_ptr 0
		.amdhsa_user_sgpr_queue_ptr 0
		.amdhsa_user_sgpr_kernarg_segment_ptr 1
		.amdhsa_user_sgpr_dispatch_id 0
		.amdhsa_user_sgpr_private_segment_size 0
		.amdhsa_wavefront_size32 1
		.amdhsa_uses_dynamic_stack 0
		.amdhsa_enable_private_segment 0
		.amdhsa_system_sgpr_workgroup_id_x 1
		.amdhsa_system_sgpr_workgroup_id_y 0
		.amdhsa_system_sgpr_workgroup_id_z 0
		.amdhsa_system_sgpr_workgroup_info 0
		.amdhsa_system_vgpr_workitem_id 0
		.amdhsa_next_free_vgpr 8
		.amdhsa_next_free_sgpr 16
		.amdhsa_reserve_vcc 1
		.amdhsa_float_round_mode_32 0
		.amdhsa_float_round_mode_16_64 0
		.amdhsa_float_denorm_mode_32 3
		.amdhsa_float_denorm_mode_16_64 3
		.amdhsa_dx10_clamp 1
		.amdhsa_ieee_mode 1
		.amdhsa_fp16_overflow 0
		.amdhsa_workgroup_processor_mode 1
		.amdhsa_memory_ordered 1
		.amdhsa_forward_progress 0
		.amdhsa_shared_vgpr_count 0
		.amdhsa_exception_fp_ieee_invalid_op 0
		.amdhsa_exception_fp_denorm_src 0
		.amdhsa_exception_fp_ieee_div_zero 0
		.amdhsa_exception_fp_ieee_overflow 0
		.amdhsa_exception_fp_ieee_underflow 0
		.amdhsa_exception_fp_ieee_inexact 0
		.amdhsa_exception_int_div_zero 0
	.end_amdhsa_kernel
	.section	.text._ZN7rocprim6detail19block_reduce_kernelILb1ELb0ELj4ENS0_21wrapped_reduce_configINS_14default_configEdEEdN6thrust11hip_rocprim26transform_input_iterator_tIdNS5_6detail15normal_iteratorINS5_10device_ptrIdEEEEZ4mainEUldE_EEPddNS5_4plusIdEEEEvT4_mT5_T6_T7_,"axG",@progbits,_ZN7rocprim6detail19block_reduce_kernelILb1ELb0ELj4ENS0_21wrapped_reduce_configINS_14default_configEdEEdN6thrust11hip_rocprim26transform_input_iterator_tIdNS5_6detail15normal_iteratorINS5_10device_ptrIdEEEEZ4mainEUldE_EEPddNS5_4plusIdEEEEvT4_mT5_T6_T7_,comdat
.Lfunc_end20:
	.size	_ZN7rocprim6detail19block_reduce_kernelILb1ELb0ELj4ENS0_21wrapped_reduce_configINS_14default_configEdEEdN6thrust11hip_rocprim26transform_input_iterator_tIdNS5_6detail15normal_iteratorINS5_10device_ptrIdEEEEZ4mainEUldE_EEPddNS5_4plusIdEEEEvT4_mT5_T6_T7_, .Lfunc_end20-_ZN7rocprim6detail19block_reduce_kernelILb1ELb0ELj4ENS0_21wrapped_reduce_configINS_14default_configEdEEdN6thrust11hip_rocprim26transform_input_iterator_tIdNS5_6detail15normal_iteratorINS5_10device_ptrIdEEEEZ4mainEUldE_EEPddNS5_4plusIdEEEEvT4_mT5_T6_T7_
                                        ; -- End function
	.section	.AMDGPU.csdata,"",@progbits
; Kernel info:
; codeLenInByte = 1488
; NumSgprs: 18
; NumVgprs: 8
; ScratchSize: 0
; MemoryBound: 0
; FloatMode: 240
; IeeeMode: 1
; LDSByteSize: 128 bytes/workgroup (compile time only)
; SGPRBlocks: 2
; VGPRBlocks: 0
; NumSGPRsForWavesPerEU: 18
; NumVGPRsForWavesPerEU: 8
; Occupancy: 16
; WaveLimiterHint : 0
; COMPUTE_PGM_RSRC2:SCRATCH_EN: 0
; COMPUTE_PGM_RSRC2:USER_SGPR: 15
; COMPUTE_PGM_RSRC2:TRAP_HANDLER: 0
; COMPUTE_PGM_RSRC2:TGID_X_EN: 1
; COMPUTE_PGM_RSRC2:TGID_Y_EN: 0
; COMPUTE_PGM_RSRC2:TGID_Z_EN: 0
; COMPUTE_PGM_RSRC2:TIDIG_COMP_CNT: 0
	.section	.text._ZN7rocprim6detail19block_reduce_kernelILb1ELb0ELj2ENS0_21wrapped_reduce_configINS_14default_configEdEEdN6thrust11hip_rocprim26transform_input_iterator_tIdNS5_6detail15normal_iteratorINS5_10device_ptrIdEEEEZ4mainEUldE_EEPddNS5_4plusIdEEEEvT4_mT5_T6_T7_,"axG",@progbits,_ZN7rocprim6detail19block_reduce_kernelILb1ELb0ELj2ENS0_21wrapped_reduce_configINS_14default_configEdEEdN6thrust11hip_rocprim26transform_input_iterator_tIdNS5_6detail15normal_iteratorINS5_10device_ptrIdEEEEZ4mainEUldE_EEPddNS5_4plusIdEEEEvT4_mT5_T6_T7_,comdat
	.globl	_ZN7rocprim6detail19block_reduce_kernelILb1ELb0ELj2ENS0_21wrapped_reduce_configINS_14default_configEdEEdN6thrust11hip_rocprim26transform_input_iterator_tIdNS5_6detail15normal_iteratorINS5_10device_ptrIdEEEEZ4mainEUldE_EEPddNS5_4plusIdEEEEvT4_mT5_T6_T7_ ; -- Begin function _ZN7rocprim6detail19block_reduce_kernelILb1ELb0ELj2ENS0_21wrapped_reduce_configINS_14default_configEdEEdN6thrust11hip_rocprim26transform_input_iterator_tIdNS5_6detail15normal_iteratorINS5_10device_ptrIdEEEEZ4mainEUldE_EEPddNS5_4plusIdEEEEvT4_mT5_T6_T7_
	.p2align	8
	.type	_ZN7rocprim6detail19block_reduce_kernelILb1ELb0ELj2ENS0_21wrapped_reduce_configINS_14default_configEdEEdN6thrust11hip_rocprim26transform_input_iterator_tIdNS5_6detail15normal_iteratorINS5_10device_ptrIdEEEEZ4mainEUldE_EEPddNS5_4plusIdEEEEvT4_mT5_T6_T7_,@function
_ZN7rocprim6detail19block_reduce_kernelILb1ELb0ELj2ENS0_21wrapped_reduce_configINS_14default_configEdEEdN6thrust11hip_rocprim26transform_input_iterator_tIdNS5_6detail15normal_iteratorINS5_10device_ptrIdEEEEZ4mainEUldE_EEPddNS5_4plusIdEEEEvT4_mT5_T6_T7_: ; @_ZN7rocprim6detail19block_reduce_kernelILb1ELb0ELj2ENS0_21wrapped_reduce_configINS_14default_configEdEEdN6thrust11hip_rocprim26transform_input_iterator_tIdNS5_6detail15normal_iteratorINS5_10device_ptrIdEEEEZ4mainEUldE_EEPddNS5_4plusIdEEEEvT4_mT5_T6_T7_
; %bb.0:
	s_clause 0x2
	s_load_b128 s[4:7], s[0:1], 0x10
	s_load_b64 s[10:11], s[0:1], 0x0
	s_load_b64 s[2:3], s[0:1], 0x20
	s_mov_b32 s1, 0
	s_lshl_b32 s0, s15, 9
	v_lshlrev_b32_e32 v1, 3, v0
	s_lshl_b64 s[12:13], s[0:1], 3
	s_mov_b32 s8, s15
	s_mov_b32 s9, s1
	v_mbcnt_lo_u32_b32 v7, -1, 0
	s_waitcnt lgkmcnt(0)
	s_lshr_b64 s[14:15], s[4:5], 9
	s_add_u32 s1, s10, s12
	s_addc_u32 s10, s11, s13
	v_add_co_u32 v5, s1, s1, v1
	s_delay_alu instid0(VALU_DEP_1)
	v_add_co_ci_u32_e64 v6, null, s10, 0, s1
	s_cmp_lg_u64 s[14:15], s[8:9]
	s_cbranch_scc0 .LBB21_6
; %bb.1:
	s_clause 0x1
	global_load_b64 v[1:2], v[5:6], off
	global_load_b64 v[3:4], v[5:6], off offset:2048
	s_mov_b32 s1, exec_lo
	s_waitcnt vmcnt(0)
	v_add_f64 v[1:2], |v[1:2]|, |v[3:4]|
	s_delay_alu instid0(VALU_DEP_1) | instskip(NEXT) | instid1(VALU_DEP_2)
	v_mov_b32_dpp v3, v1 quad_perm:[1,0,3,2] row_mask:0xf bank_mask:0xf
	v_mov_b32_dpp v4, v2 quad_perm:[1,0,3,2] row_mask:0xf bank_mask:0xf
	s_delay_alu instid0(VALU_DEP_1) | instskip(NEXT) | instid1(VALU_DEP_1)
	v_add_f64 v[1:2], v[1:2], v[3:4]
	v_mov_b32_dpp v3, v1 quad_perm:[2,3,0,1] row_mask:0xf bank_mask:0xf
	s_delay_alu instid0(VALU_DEP_2) | instskip(NEXT) | instid1(VALU_DEP_1)
	v_mov_b32_dpp v4, v2 quad_perm:[2,3,0,1] row_mask:0xf bank_mask:0xf
	v_add_f64 v[1:2], v[1:2], v[3:4]
	s_delay_alu instid0(VALU_DEP_1) | instskip(NEXT) | instid1(VALU_DEP_2)
	v_mov_b32_dpp v3, v1 row_ror:4 row_mask:0xf bank_mask:0xf
	v_mov_b32_dpp v4, v2 row_ror:4 row_mask:0xf bank_mask:0xf
	s_delay_alu instid0(VALU_DEP_1) | instskip(NEXT) | instid1(VALU_DEP_1)
	v_add_f64 v[1:2], v[1:2], v[3:4]
	v_mov_b32_dpp v3, v1 row_ror:8 row_mask:0xf bank_mask:0xf
	s_delay_alu instid0(VALU_DEP_2) | instskip(NEXT) | instid1(VALU_DEP_1)
	v_mov_b32_dpp v4, v2 row_ror:8 row_mask:0xf bank_mask:0xf
	v_add_f64 v[1:2], v[1:2], v[3:4]
	ds_swizzle_b32 v3, v1 offset:swizzle(BROADCAST,32,15)
	ds_swizzle_b32 v4, v2 offset:swizzle(BROADCAST,32,15)
	s_waitcnt lgkmcnt(0)
	v_add_f64 v[1:2], v[1:2], v[3:4]
	v_mov_b32_e32 v3, 0
	ds_bpermute_b32 v1, v3, v1 offset:124
	ds_bpermute_b32 v2, v3, v2 offset:124
	v_cmpx_eq_u32_e32 0, v7
	s_cbranch_execz .LBB21_3
; %bb.2:
	v_lshrrev_b32_e32 v3, 2, v0
	s_delay_alu instid0(VALU_DEP_1)
	v_and_b32_e32 v3, 56, v3
	s_waitcnt lgkmcnt(0)
	ds_store_b64 v3, v[1:2]
.LBB21_3:
	s_or_b32 exec_lo, exec_lo, s1
	s_delay_alu instid0(SALU_CYCLE_1)
	s_mov_b32 s1, exec_lo
	s_waitcnt lgkmcnt(0)
	s_barrier
	buffer_gl0_inv
	v_cmpx_gt_u32_e32 32, v0
	s_cbranch_execz .LBB21_5
; %bb.4:
	v_and_b32_e32 v8, 7, v7
	s_delay_alu instid0(VALU_DEP_1) | instskip(SKIP_4) | instid1(VALU_DEP_2)
	v_lshlrev_b32_e32 v1, 3, v8
	v_cmp_ne_u32_e32 vcc_lo, 7, v8
	ds_load_b64 v[1:2], v1
	v_add_co_ci_u32_e32 v3, vcc_lo, 0, v7, vcc_lo
	v_cmp_gt_u32_e32 vcc_lo, 6, v8
	v_lshlrev_b32_e32 v4, 2, v3
	s_waitcnt lgkmcnt(0)
	ds_bpermute_b32 v3, v4, v1
	ds_bpermute_b32 v4, v4, v2
	s_waitcnt lgkmcnt(0)
	v_add_f64 v[1:2], v[1:2], v[3:4]
	v_cndmask_b32_e64 v3, 0, 1, vcc_lo
	v_cmp_gt_u32_e32 vcc_lo, 4, v8
	s_delay_alu instid0(VALU_DEP_2) | instskip(NEXT) | instid1(VALU_DEP_1)
	v_lshlrev_b32_e32 v3, 1, v3
	v_add_lshl_u32 v4, v3, v7, 2
	ds_bpermute_b32 v3, v4, v1
	ds_bpermute_b32 v4, v4, v2
	s_waitcnt lgkmcnt(0)
	v_add_f64 v[1:2], v[1:2], v[3:4]
	v_cndmask_b32_e64 v3, 0, 1, vcc_lo
	s_delay_alu instid0(VALU_DEP_1) | instskip(NEXT) | instid1(VALU_DEP_1)
	v_lshlrev_b32_e32 v3, 2, v3
	v_add_lshl_u32 v4, v3, v7, 2
	ds_bpermute_b32 v3, v4, v1
	ds_bpermute_b32 v4, v4, v2
	s_waitcnt lgkmcnt(0)
	v_add_f64 v[1:2], v[1:2], v[3:4]
.LBB21_5:
	s_or_b32 exec_lo, exec_lo, s1
	s_branch .LBB21_32
.LBB21_6:
                                        ; implicit-def: $vgpr1_vgpr2
	s_cbranch_execz .LBB21_32
; %bb.7:
	s_sub_i32 s1, s4, s0
	s_mov_b32 s0, exec_lo
                                        ; implicit-def: $vgpr1_vgpr2_vgpr3_vgpr4
	v_cmpx_gt_u32_e64 s1, v0
	s_cbranch_execz .LBB21_9
; %bb.8:
	global_load_b64 v[1:2], v[5:6], off
	s_waitcnt vmcnt(0)
	v_and_b32_e32 v2, 0x7fffffff, v2
.LBB21_9:
	s_or_b32 exec_lo, exec_lo, s0
	v_or_b32_e32 v8, 0x100, v0
	s_delay_alu instid0(VALU_DEP_1)
	v_cmp_gt_u32_e32 vcc_lo, s1, v8
	s_and_saveexec_b32 s0, vcc_lo
	s_cbranch_execz .LBB21_11
; %bb.10:
	global_load_b64 v[3:4], v[5:6], off offset:2048
	s_waitcnt vmcnt(0)
	v_and_b32_e32 v4, 0x7fffffff, v4
.LBB21_11:
	s_or_b32 exec_lo, exec_lo, s0
	s_delay_alu instid0(VALU_DEP_1) | instskip(SKIP_2) | instid1(VALU_DEP_2)
	v_add_f64 v[3:4], v[1:2], v[3:4]
	v_cmp_ne_u32_e64 s0, 31, v7
	v_add_nc_u32_e32 v6, 1, v7
	v_add_co_ci_u32_e64 v5, s0, 0, v7, s0
	s_min_u32 s0, s1, 0x100
	s_mov_b32 s1, exec_lo
	s_delay_alu instid0(VALU_DEP_1) | instskip(SKIP_4) | instid1(VALU_DEP_1)
	v_dual_cndmask_b32 v2, v2, v4 :: v_dual_lshlrev_b32 v5, 2, v5
	v_cndmask_b32_e32 v1, v1, v3, vcc_lo
	ds_bpermute_b32 v4, v5, v2
	ds_bpermute_b32 v3, v5, v1
	v_and_b32_e32 v5, 0xe0, v0
	v_sub_nc_u32_e64 v5, s0, v5 clamp
	s_delay_alu instid0(VALU_DEP_1)
	v_cmpx_lt_u32_e64 v6, v5
	s_cbranch_execz .LBB21_13
; %bb.12:
	s_waitcnt lgkmcnt(0)
	v_add_f64 v[1:2], v[1:2], v[3:4]
.LBB21_13:
	s_or_b32 exec_lo, exec_lo, s1
	v_cmp_gt_u32_e32 vcc_lo, 30, v7
	v_add_nc_u32_e32 v6, 2, v7
	s_mov_b32 s1, exec_lo
	s_waitcnt lgkmcnt(0)
	v_cndmask_b32_e64 v3, 0, 1, vcc_lo
	s_delay_alu instid0(VALU_DEP_1) | instskip(NEXT) | instid1(VALU_DEP_1)
	v_lshlrev_b32_e32 v3, 1, v3
	v_add_lshl_u32 v4, v3, v7, 2
	ds_bpermute_b32 v3, v4, v1
	ds_bpermute_b32 v4, v4, v2
	v_cmpx_lt_u32_e64 v6, v5
	s_cbranch_execz .LBB21_15
; %bb.14:
	s_waitcnt lgkmcnt(0)
	v_add_f64 v[1:2], v[1:2], v[3:4]
.LBB21_15:
	s_or_b32 exec_lo, exec_lo, s1
	v_cmp_gt_u32_e32 vcc_lo, 28, v7
	v_add_nc_u32_e32 v6, 4, v7
	s_mov_b32 s1, exec_lo
	s_waitcnt lgkmcnt(1)
	v_cndmask_b32_e64 v3, 0, 1, vcc_lo
	s_delay_alu instid0(VALU_DEP_1) | instskip(SKIP_1) | instid1(VALU_DEP_1)
	v_lshlrev_b32_e32 v3, 2, v3
	s_waitcnt lgkmcnt(0)
	v_add_lshl_u32 v4, v3, v7, 2
	ds_bpermute_b32 v3, v4, v1
	ds_bpermute_b32 v4, v4, v2
	v_cmpx_lt_u32_e64 v6, v5
	s_cbranch_execz .LBB21_17
; %bb.16:
	s_waitcnt lgkmcnt(0)
	v_add_f64 v[1:2], v[1:2], v[3:4]
.LBB21_17:
	s_or_b32 exec_lo, exec_lo, s1
	v_cmp_gt_u32_e32 vcc_lo, 24, v7
	v_add_nc_u32_e32 v6, 8, v7
	s_mov_b32 s1, exec_lo
	s_waitcnt lgkmcnt(1)
	v_cndmask_b32_e64 v3, 0, 1, vcc_lo
	s_delay_alu instid0(VALU_DEP_1) | instskip(SKIP_1) | instid1(VALU_DEP_1)
	v_lshlrev_b32_e32 v3, 3, v3
	s_waitcnt lgkmcnt(0)
	;; [unrolled: 18-line block ×3, first 2 shown]
	v_add_lshl_u32 v4, v3, v7, 2
	ds_bpermute_b32 v3, v4, v1
	ds_bpermute_b32 v4, v4, v2
	v_cmpx_lt_u32_e64 v6, v5
	s_cbranch_execz .LBB21_21
; %bb.20:
	s_waitcnt lgkmcnt(0)
	v_add_f64 v[1:2], v[1:2], v[3:4]
.LBB21_21:
	s_or_b32 exec_lo, exec_lo, s1
	s_delay_alu instid0(SALU_CYCLE_1)
	s_mov_b32 s1, exec_lo
	v_cmpx_eq_u32_e32 0, v7
	s_cbranch_execz .LBB21_23
; %bb.22:
	s_waitcnt lgkmcnt(1)
	v_lshrrev_b32_e32 v3, 2, v0
	s_delay_alu instid0(VALU_DEP_1)
	v_and_b32_e32 v3, 56, v3
	ds_store_b64 v3, v[1:2] offset:64
.LBB21_23:
	s_or_b32 exec_lo, exec_lo, s1
	s_delay_alu instid0(SALU_CYCLE_1)
	s_mov_b32 s1, exec_lo
	s_waitcnt lgkmcnt(0)
	s_barrier
	buffer_gl0_inv
	v_cmpx_gt_u32_e32 8, v0
	s_cbranch_execz .LBB21_31
; %bb.24:
	v_lshlrev_b32_e32 v1, 3, v7
	v_and_b32_e32 v5, 7, v7
	s_add_i32 s0, s0, 31
	s_mov_b32 s10, exec_lo
	s_lshr_b32 s0, s0, 5
	ds_load_b64 v[1:2], v1 offset:64
	v_cmp_ne_u32_e32 vcc_lo, 7, v5
	v_add_nc_u32_e32 v6, 1, v5
	v_add_co_ci_u32_e32 v3, vcc_lo, 0, v7, vcc_lo
	s_delay_alu instid0(VALU_DEP_1)
	v_lshlrev_b32_e32 v4, 2, v3
	s_waitcnt lgkmcnt(0)
	ds_bpermute_b32 v3, v4, v1
	ds_bpermute_b32 v4, v4, v2
	v_cmpx_gt_u32_e64 s0, v6
	s_cbranch_execz .LBB21_26
; %bb.25:
	s_waitcnt lgkmcnt(0)
	v_add_f64 v[1:2], v[1:2], v[3:4]
.LBB21_26:
	s_or_b32 exec_lo, exec_lo, s10
	v_cmp_gt_u32_e32 vcc_lo, 6, v5
	v_add_nc_u32_e32 v6, 2, v5
	s_mov_b32 s10, exec_lo
	s_waitcnt lgkmcnt(1)
	v_cndmask_b32_e64 v3, 0, 1, vcc_lo
	s_delay_alu instid0(VALU_DEP_1) | instskip(SKIP_1) | instid1(VALU_DEP_1)
	v_lshlrev_b32_e32 v3, 1, v3
	s_waitcnt lgkmcnt(0)
	v_add_lshl_u32 v4, v3, v7, 2
	ds_bpermute_b32 v3, v4, v1
	ds_bpermute_b32 v4, v4, v2
	v_cmpx_gt_u32_e64 s0, v6
	s_cbranch_execz .LBB21_28
; %bb.27:
	s_waitcnt lgkmcnt(0)
	v_add_f64 v[1:2], v[1:2], v[3:4]
.LBB21_28:
	s_or_b32 exec_lo, exec_lo, s10
	v_cmp_gt_u32_e32 vcc_lo, 4, v5
	v_add_nc_u32_e32 v5, 4, v5
	s_waitcnt lgkmcnt(1)
	v_cndmask_b32_e64 v3, 0, 1, vcc_lo
	s_delay_alu instid0(VALU_DEP_2) | instskip(NEXT) | instid1(VALU_DEP_2)
	v_cmp_gt_u32_e32 vcc_lo, s0, v5
	v_lshlrev_b32_e32 v3, 2, v3
	s_waitcnt lgkmcnt(0)
	s_delay_alu instid0(VALU_DEP_1)
	v_add_lshl_u32 v4, v3, v7, 2
	ds_bpermute_b32 v3, v4, v1
	ds_bpermute_b32 v4, v4, v2
	s_and_saveexec_b32 s0, vcc_lo
	s_cbranch_execz .LBB21_30
; %bb.29:
	s_waitcnt lgkmcnt(0)
	v_add_f64 v[1:2], v[1:2], v[3:4]
.LBB21_30:
	s_or_b32 exec_lo, exec_lo, s0
.LBB21_31:
	s_delay_alu instid0(SALU_CYCLE_1)
	s_or_b32 exec_lo, exec_lo, s1
.LBB21_32:
	s_delay_alu instid0(SALU_CYCLE_1)
	s_mov_b32 s0, exec_lo
	v_cmpx_eq_u32_e32 0, v0
	s_cbranch_execz .LBB21_34
; %bb.33:
	s_delay_alu instid0(VALU_DEP_2)
	v_add_f64 v[0:1], v[1:2], s[2:3]
	s_lshl_b64 s[0:1], s[8:9], 3
	v_mov_b32_e32 v2, 0
	s_add_u32 s0, s6, s0
	s_addc_u32 s1, s7, s1
	s_cmp_eq_u64 s[4:5], 0
	s_cselect_b32 s4, -1, 0
	s_delay_alu instid0(VALU_DEP_2) | instid1(SALU_CYCLE_1)
	v_cndmask_b32_e64 v1, v1, s3, s4
	s_delay_alu instid0(VALU_DEP_3)
	v_cndmask_b32_e64 v0, v0, s2, s4
	global_store_b64 v2, v[0:1], s[0:1]
.LBB21_34:
	s_nop 0
	s_sendmsg sendmsg(MSG_DEALLOC_VGPRS)
	s_endpgm
	.section	.rodata,"a",@progbits
	.p2align	6, 0x0
	.amdhsa_kernel _ZN7rocprim6detail19block_reduce_kernelILb1ELb0ELj2ENS0_21wrapped_reduce_configINS_14default_configEdEEdN6thrust11hip_rocprim26transform_input_iterator_tIdNS5_6detail15normal_iteratorINS5_10device_ptrIdEEEEZ4mainEUldE_EEPddNS5_4plusIdEEEEvT4_mT5_T6_T7_
		.amdhsa_group_segment_fixed_size 128
		.amdhsa_private_segment_fixed_size 0
		.amdhsa_kernarg_size 44
		.amdhsa_user_sgpr_count 15
		.amdhsa_user_sgpr_dispatch_ptr 0
		.amdhsa_user_sgpr_queue_ptr 0
		.amdhsa_user_sgpr_kernarg_segment_ptr 1
		.amdhsa_user_sgpr_dispatch_id 0
		.amdhsa_user_sgpr_private_segment_size 0
		.amdhsa_wavefront_size32 1
		.amdhsa_uses_dynamic_stack 0
		.amdhsa_enable_private_segment 0
		.amdhsa_system_sgpr_workgroup_id_x 1
		.amdhsa_system_sgpr_workgroup_id_y 0
		.amdhsa_system_sgpr_workgroup_id_z 0
		.amdhsa_system_sgpr_workgroup_info 0
		.amdhsa_system_vgpr_workitem_id 0
		.amdhsa_next_free_vgpr 9
		.amdhsa_next_free_sgpr 16
		.amdhsa_reserve_vcc 1
		.amdhsa_float_round_mode_32 0
		.amdhsa_float_round_mode_16_64 0
		.amdhsa_float_denorm_mode_32 3
		.amdhsa_float_denorm_mode_16_64 3
		.amdhsa_dx10_clamp 1
		.amdhsa_ieee_mode 1
		.amdhsa_fp16_overflow 0
		.amdhsa_workgroup_processor_mode 1
		.amdhsa_memory_ordered 1
		.amdhsa_forward_progress 0
		.amdhsa_shared_vgpr_count 0
		.amdhsa_exception_fp_ieee_invalid_op 0
		.amdhsa_exception_fp_denorm_src 0
		.amdhsa_exception_fp_ieee_div_zero 0
		.amdhsa_exception_fp_ieee_overflow 0
		.amdhsa_exception_fp_ieee_underflow 0
		.amdhsa_exception_fp_ieee_inexact 0
		.amdhsa_exception_int_div_zero 0
	.end_amdhsa_kernel
	.section	.text._ZN7rocprim6detail19block_reduce_kernelILb1ELb0ELj2ENS0_21wrapped_reduce_configINS_14default_configEdEEdN6thrust11hip_rocprim26transform_input_iterator_tIdNS5_6detail15normal_iteratorINS5_10device_ptrIdEEEEZ4mainEUldE_EEPddNS5_4plusIdEEEEvT4_mT5_T6_T7_,"axG",@progbits,_ZN7rocprim6detail19block_reduce_kernelILb1ELb0ELj2ENS0_21wrapped_reduce_configINS_14default_configEdEEdN6thrust11hip_rocprim26transform_input_iterator_tIdNS5_6detail15normal_iteratorINS5_10device_ptrIdEEEEZ4mainEUldE_EEPddNS5_4plusIdEEEEvT4_mT5_T6_T7_,comdat
.Lfunc_end21:
	.size	_ZN7rocprim6detail19block_reduce_kernelILb1ELb0ELj2ENS0_21wrapped_reduce_configINS_14default_configEdEEdN6thrust11hip_rocprim26transform_input_iterator_tIdNS5_6detail15normal_iteratorINS5_10device_ptrIdEEEEZ4mainEUldE_EEPddNS5_4plusIdEEEEvT4_mT5_T6_T7_, .Lfunc_end21-_ZN7rocprim6detail19block_reduce_kernelILb1ELb0ELj2ENS0_21wrapped_reduce_configINS_14default_configEdEEdN6thrust11hip_rocprim26transform_input_iterator_tIdNS5_6detail15normal_iteratorINS5_10device_ptrIdEEEEZ4mainEUldE_EEPddNS5_4plusIdEEEEvT4_mT5_T6_T7_
                                        ; -- End function
	.section	.AMDGPU.csdata,"",@progbits
; Kernel info:
; codeLenInByte = 1580
; NumSgprs: 18
; NumVgprs: 9
; ScratchSize: 0
; MemoryBound: 0
; FloatMode: 240
; IeeeMode: 1
; LDSByteSize: 128 bytes/workgroup (compile time only)
; SGPRBlocks: 2
; VGPRBlocks: 1
; NumSGPRsForWavesPerEU: 18
; NumVGPRsForWavesPerEU: 9
; Occupancy: 16
; WaveLimiterHint : 1
; COMPUTE_PGM_RSRC2:SCRATCH_EN: 0
; COMPUTE_PGM_RSRC2:USER_SGPR: 15
; COMPUTE_PGM_RSRC2:TRAP_HANDLER: 0
; COMPUTE_PGM_RSRC2:TGID_X_EN: 1
; COMPUTE_PGM_RSRC2:TGID_Y_EN: 0
; COMPUTE_PGM_RSRC2:TGID_Z_EN: 0
; COMPUTE_PGM_RSRC2:TIDIG_COMP_CNT: 0
	.section	.text._ZN7rocprim6detail19block_reduce_kernelILb1ELb0ELj1ENS0_21wrapped_reduce_configINS_14default_configEdEEdN6thrust11hip_rocprim26transform_input_iterator_tIdNS5_6detail15normal_iteratorINS5_10device_ptrIdEEEEZ4mainEUldE_EEPddNS5_4plusIdEEEEvT4_mT5_T6_T7_,"axG",@progbits,_ZN7rocprim6detail19block_reduce_kernelILb1ELb0ELj1ENS0_21wrapped_reduce_configINS_14default_configEdEEdN6thrust11hip_rocprim26transform_input_iterator_tIdNS5_6detail15normal_iteratorINS5_10device_ptrIdEEEEZ4mainEUldE_EEPddNS5_4plusIdEEEEvT4_mT5_T6_T7_,comdat
	.globl	_ZN7rocprim6detail19block_reduce_kernelILb1ELb0ELj1ENS0_21wrapped_reduce_configINS_14default_configEdEEdN6thrust11hip_rocprim26transform_input_iterator_tIdNS5_6detail15normal_iteratorINS5_10device_ptrIdEEEEZ4mainEUldE_EEPddNS5_4plusIdEEEEvT4_mT5_T6_T7_ ; -- Begin function _ZN7rocprim6detail19block_reduce_kernelILb1ELb0ELj1ENS0_21wrapped_reduce_configINS_14default_configEdEEdN6thrust11hip_rocprim26transform_input_iterator_tIdNS5_6detail15normal_iteratorINS5_10device_ptrIdEEEEZ4mainEUldE_EEPddNS5_4plusIdEEEEvT4_mT5_T6_T7_
	.p2align	8
	.type	_ZN7rocprim6detail19block_reduce_kernelILb1ELb0ELj1ENS0_21wrapped_reduce_configINS_14default_configEdEEdN6thrust11hip_rocprim26transform_input_iterator_tIdNS5_6detail15normal_iteratorINS5_10device_ptrIdEEEEZ4mainEUldE_EEPddNS5_4plusIdEEEEvT4_mT5_T6_T7_,@function
_ZN7rocprim6detail19block_reduce_kernelILb1ELb0ELj1ENS0_21wrapped_reduce_configINS_14default_configEdEEdN6thrust11hip_rocprim26transform_input_iterator_tIdNS5_6detail15normal_iteratorINS5_10device_ptrIdEEEEZ4mainEUldE_EEPddNS5_4plusIdEEEEvT4_mT5_T6_T7_: ; @_ZN7rocprim6detail19block_reduce_kernelILb1ELb0ELj1ENS0_21wrapped_reduce_configINS_14default_configEdEEdN6thrust11hip_rocprim26transform_input_iterator_tIdNS5_6detail15normal_iteratorINS5_10device_ptrIdEEEEZ4mainEUldE_EEPddNS5_4plusIdEEEEvT4_mT5_T6_T7_
; %bb.0:
	s_clause 0x2
	s_load_b128 s[4:7], s[0:1], 0x10
	s_load_b64 s[2:3], s[0:1], 0x0
	s_load_b64 s[8:9], s[0:1], 0x20
	s_mov_b32 s1, 0
	s_lshl_b32 s0, s15, 10
	v_lshlrev_b32_e32 v1, 3, v0
	s_lshl_b64 s[12:13], s[0:1], 3
	s_mov_b32 s10, s15
	s_mov_b32 s11, s1
	v_mbcnt_lo_u32_b32 v11, -1, 0
	s_waitcnt lgkmcnt(0)
	s_lshr_b64 s[14:15], s[4:5], 10
	s_add_u32 s1, s2, s12
	s_addc_u32 s2, s3, s13
	v_add_co_u32 v9, s1, s1, v1
	s_delay_alu instid0(VALU_DEP_1)
	v_add_co_ci_u32_e64 v10, null, s2, 0, s1
	s_cmp_lg_u64 s[14:15], s[10:11]
	s_cbranch_scc0 .LBB22_6
; %bb.1:
	s_clause 0x1
	global_load_b64 v[1:2], v[9:10], off
	global_load_b64 v[3:4], v[9:10], off offset:2048
	v_add_co_u32 v5, vcc_lo, 0x1000, v9
	v_add_co_ci_u32_e32 v6, vcc_lo, 0, v10, vcc_lo
	s_mov_b32 s1, exec_lo
	s_clause 0x1
	global_load_b64 v[7:8], v[5:6], off
	global_load_b64 v[5:6], v[5:6], off offset:2048
	s_waitcnt vmcnt(2)
	v_add_f64 v[1:2], |v[1:2]|, |v[3:4]|
	s_waitcnt vmcnt(1)
	s_delay_alu instid0(VALU_DEP_1) | instskip(SKIP_1) | instid1(VALU_DEP_1)
	v_add_f64 v[1:2], v[1:2], |v[7:8]|
	s_waitcnt vmcnt(0)
	v_add_f64 v[1:2], v[1:2], |v[5:6]|
	s_delay_alu instid0(VALU_DEP_1) | instskip(NEXT) | instid1(VALU_DEP_2)
	v_mov_b32_dpp v3, v1 quad_perm:[1,0,3,2] row_mask:0xf bank_mask:0xf
	v_mov_b32_dpp v4, v2 quad_perm:[1,0,3,2] row_mask:0xf bank_mask:0xf
	s_delay_alu instid0(VALU_DEP_1) | instskip(NEXT) | instid1(VALU_DEP_1)
	v_add_f64 v[1:2], v[1:2], v[3:4]
	v_mov_b32_dpp v3, v1 quad_perm:[2,3,0,1] row_mask:0xf bank_mask:0xf
	s_delay_alu instid0(VALU_DEP_2) | instskip(NEXT) | instid1(VALU_DEP_1)
	v_mov_b32_dpp v4, v2 quad_perm:[2,3,0,1] row_mask:0xf bank_mask:0xf
	v_add_f64 v[1:2], v[1:2], v[3:4]
	s_delay_alu instid0(VALU_DEP_1) | instskip(NEXT) | instid1(VALU_DEP_2)
	v_mov_b32_dpp v3, v1 row_ror:4 row_mask:0xf bank_mask:0xf
	v_mov_b32_dpp v4, v2 row_ror:4 row_mask:0xf bank_mask:0xf
	s_delay_alu instid0(VALU_DEP_1) | instskip(NEXT) | instid1(VALU_DEP_1)
	v_add_f64 v[1:2], v[1:2], v[3:4]
	v_mov_b32_dpp v3, v1 row_ror:8 row_mask:0xf bank_mask:0xf
	s_delay_alu instid0(VALU_DEP_2) | instskip(NEXT) | instid1(VALU_DEP_1)
	v_mov_b32_dpp v4, v2 row_ror:8 row_mask:0xf bank_mask:0xf
	v_add_f64 v[1:2], v[1:2], v[3:4]
	ds_swizzle_b32 v3, v1 offset:swizzle(BROADCAST,32,15)
	ds_swizzle_b32 v4, v2 offset:swizzle(BROADCAST,32,15)
	s_waitcnt lgkmcnt(0)
	v_add_f64 v[1:2], v[1:2], v[3:4]
	v_mov_b32_e32 v3, 0
	ds_bpermute_b32 v1, v3, v1 offset:124
	ds_bpermute_b32 v2, v3, v2 offset:124
	v_cmpx_eq_u32_e32 0, v11
	s_cbranch_execz .LBB22_3
; %bb.2:
	v_lshrrev_b32_e32 v3, 2, v0
	s_delay_alu instid0(VALU_DEP_1)
	v_and_b32_e32 v3, 56, v3
	s_waitcnt lgkmcnt(0)
	ds_store_b64 v3, v[1:2]
.LBB22_3:
	s_or_b32 exec_lo, exec_lo, s1
	s_delay_alu instid0(SALU_CYCLE_1)
	s_mov_b32 s1, exec_lo
	s_waitcnt lgkmcnt(0)
	s_barrier
	buffer_gl0_inv
	v_cmpx_gt_u32_e32 32, v0
	s_cbranch_execz .LBB22_5
; %bb.4:
	v_and_b32_e32 v5, 7, v11
	s_delay_alu instid0(VALU_DEP_1) | instskip(SKIP_4) | instid1(VALU_DEP_2)
	v_lshlrev_b32_e32 v1, 3, v5
	v_cmp_ne_u32_e32 vcc_lo, 7, v5
	ds_load_b64 v[1:2], v1
	v_add_co_ci_u32_e32 v3, vcc_lo, 0, v11, vcc_lo
	v_cmp_gt_u32_e32 vcc_lo, 6, v5
	v_lshlrev_b32_e32 v4, 2, v3
	s_waitcnt lgkmcnt(0)
	ds_bpermute_b32 v3, v4, v1
	ds_bpermute_b32 v4, v4, v2
	s_waitcnt lgkmcnt(0)
	v_add_f64 v[1:2], v[1:2], v[3:4]
	v_cndmask_b32_e64 v3, 0, 1, vcc_lo
	v_cmp_gt_u32_e32 vcc_lo, 4, v5
	s_delay_alu instid0(VALU_DEP_2) | instskip(NEXT) | instid1(VALU_DEP_1)
	v_lshlrev_b32_e32 v3, 1, v3
	v_add_lshl_u32 v4, v3, v11, 2
	ds_bpermute_b32 v3, v4, v1
	ds_bpermute_b32 v4, v4, v2
	s_waitcnt lgkmcnt(0)
	v_add_f64 v[1:2], v[1:2], v[3:4]
	v_cndmask_b32_e64 v3, 0, 1, vcc_lo
	s_delay_alu instid0(VALU_DEP_1) | instskip(NEXT) | instid1(VALU_DEP_1)
	v_lshlrev_b32_e32 v3, 2, v3
	v_add_lshl_u32 v4, v3, v11, 2
	ds_bpermute_b32 v3, v4, v1
	ds_bpermute_b32 v4, v4, v2
	s_waitcnt lgkmcnt(0)
	v_add_f64 v[1:2], v[1:2], v[3:4]
.LBB22_5:
	s_or_b32 exec_lo, exec_lo, s1
	s_branch .LBB22_36
.LBB22_6:
                                        ; implicit-def: $vgpr1_vgpr2
	s_cbranch_execz .LBB22_36
; %bb.7:
	s_sub_i32 s3, s4, s0
	s_mov_b32 s0, exec_lo
                                        ; implicit-def: $vgpr1_vgpr2_vgpr3_vgpr4_vgpr5_vgpr6_vgpr7_vgpr8
	v_cmpx_gt_u32_e64 s3, v0
	s_cbranch_execz .LBB22_9
; %bb.8:
	global_load_b64 v[1:2], v[9:10], off
	s_waitcnt vmcnt(0)
	v_and_b32_e32 v2, 0x7fffffff, v2
.LBB22_9:
	s_or_b32 exec_lo, exec_lo, s0
	v_or_b32_e32 v12, 0x100, v0
	s_delay_alu instid0(VALU_DEP_1)
	v_cmp_gt_u32_e32 vcc_lo, s3, v12
	s_and_saveexec_b32 s0, vcc_lo
	s_cbranch_execz .LBB22_11
; %bb.10:
	global_load_b64 v[3:4], v[9:10], off offset:2048
	s_waitcnt vmcnt(0)
	v_and_b32_e32 v4, 0x7fffffff, v4
.LBB22_11:
	s_or_b32 exec_lo, exec_lo, s0
	v_or_b32_e32 v12, 0x200, v0
	s_delay_alu instid0(VALU_DEP_1) | instskip(NEXT) | instid1(VALU_DEP_1)
	v_cmp_gt_u32_e64 s0, s3, v12
	s_and_saveexec_b32 s2, s0
	s_cbranch_execz .LBB22_13
; %bb.12:
	v_add_co_u32 v5, s1, 0x1000, v9
	s_delay_alu instid0(VALU_DEP_1)
	v_add_co_ci_u32_e64 v6, s1, 0, v10, s1
	global_load_b64 v[5:6], v[5:6], off
	s_waitcnt vmcnt(0)
	v_and_b32_e32 v6, 0x7fffffff, v6
.LBB22_13:
	s_or_b32 exec_lo, exec_lo, s2
	v_or_b32_e32 v12, 0x300, v0
	s_delay_alu instid0(VALU_DEP_1) | instskip(NEXT) | instid1(VALU_DEP_1)
	v_cmp_gt_u32_e64 s1, s3, v12
	s_and_saveexec_b32 s12, s1
	s_cbranch_execz .LBB22_15
; %bb.14:
	v_add_co_u32 v7, s2, 0x1000, v9
	s_delay_alu instid0(VALU_DEP_1)
	v_add_co_ci_u32_e64 v8, s2, 0, v10, s2
	global_load_b64 v[7:8], v[7:8], off offset:2048
	s_waitcnt vmcnt(0)
	v_and_b32_e32 v8, 0x7fffffff, v8
.LBB22_15:
	s_or_b32 exec_lo, exec_lo, s12
	v_add_f64 v[3:4], v[1:2], v[3:4]
	s_delay_alu instid0(VALU_DEP_1) | instskip(SKIP_1) | instid1(VALU_DEP_2)
	v_dual_cndmask_b32 v2, v2, v4 :: v_dual_cndmask_b32 v1, v1, v3
	v_cmp_ne_u32_e32 vcc_lo, 31, v11
	v_add_f64 v[3:4], v[5:6], v[1:2]
	v_add_co_ci_u32_e32 v5, vcc_lo, 0, v11, vcc_lo
	v_add_nc_u32_e32 v6, 1, v11
	s_delay_alu instid0(VALU_DEP_2) | instskip(NEXT) | instid1(VALU_DEP_4)
	v_lshlrev_b32_e32 v5, 2, v5
	v_cndmask_b32_e64 v2, v2, v4, s0
	v_cndmask_b32_e64 v1, v1, v3, s0
	s_min_u32 s0, s3, 0x100
	s_delay_alu instid0(VALU_DEP_1) | instskip(NEXT) | instid1(VALU_DEP_1)
	v_add_f64 v[3:4], v[7:8], v[1:2]
	v_cndmask_b32_e64 v1, v1, v3, s1
	s_delay_alu instid0(VALU_DEP_2) | instskip(SKIP_4) | instid1(VALU_DEP_1)
	v_cndmask_b32_e64 v2, v2, v4, s1
	s_mov_b32 s1, exec_lo
	ds_bpermute_b32 v3, v5, v1
	ds_bpermute_b32 v4, v5, v2
	v_and_b32_e32 v5, 0xe0, v0
	v_sub_nc_u32_e64 v5, s0, v5 clamp
	s_delay_alu instid0(VALU_DEP_1)
	v_cmpx_lt_u32_e64 v6, v5
	s_cbranch_execz .LBB22_17
; %bb.16:
	s_waitcnt lgkmcnt(0)
	v_add_f64 v[1:2], v[1:2], v[3:4]
.LBB22_17:
	s_or_b32 exec_lo, exec_lo, s1
	v_cmp_gt_u32_e32 vcc_lo, 30, v11
	v_add_nc_u32_e32 v6, 2, v11
	s_mov_b32 s1, exec_lo
	s_waitcnt lgkmcnt(1)
	v_cndmask_b32_e64 v3, 0, 1, vcc_lo
	s_delay_alu instid0(VALU_DEP_1) | instskip(SKIP_1) | instid1(VALU_DEP_1)
	v_lshlrev_b32_e32 v3, 1, v3
	s_waitcnt lgkmcnt(0)
	v_add_lshl_u32 v4, v3, v11, 2
	ds_bpermute_b32 v3, v4, v1
	ds_bpermute_b32 v4, v4, v2
	v_cmpx_lt_u32_e64 v6, v5
	s_cbranch_execz .LBB22_19
; %bb.18:
	s_waitcnt lgkmcnt(0)
	v_add_f64 v[1:2], v[1:2], v[3:4]
.LBB22_19:
	s_or_b32 exec_lo, exec_lo, s1
	v_cmp_gt_u32_e32 vcc_lo, 28, v11
	v_add_nc_u32_e32 v6, 4, v11
	s_mov_b32 s1, exec_lo
	s_waitcnt lgkmcnt(1)
	v_cndmask_b32_e64 v3, 0, 1, vcc_lo
	s_delay_alu instid0(VALU_DEP_1) | instskip(SKIP_1) | instid1(VALU_DEP_1)
	v_lshlrev_b32_e32 v3, 2, v3
	s_waitcnt lgkmcnt(0)
	v_add_lshl_u32 v4, v3, v11, 2
	ds_bpermute_b32 v3, v4, v1
	ds_bpermute_b32 v4, v4, v2
	;; [unrolled: 18-line block ×4, first 2 shown]
	v_cmpx_lt_u32_e64 v6, v5
	s_cbranch_execz .LBB22_25
; %bb.24:
	s_waitcnt lgkmcnt(0)
	v_add_f64 v[1:2], v[1:2], v[3:4]
.LBB22_25:
	s_or_b32 exec_lo, exec_lo, s1
	s_delay_alu instid0(SALU_CYCLE_1)
	s_mov_b32 s1, exec_lo
	v_cmpx_eq_u32_e32 0, v11
	s_cbranch_execz .LBB22_27
; %bb.26:
	s_waitcnt lgkmcnt(1)
	v_lshrrev_b32_e32 v3, 2, v0
	s_delay_alu instid0(VALU_DEP_1)
	v_and_b32_e32 v3, 56, v3
	ds_store_b64 v3, v[1:2] offset:64
.LBB22_27:
	s_or_b32 exec_lo, exec_lo, s1
	s_delay_alu instid0(SALU_CYCLE_1)
	s_mov_b32 s1, exec_lo
	s_waitcnt lgkmcnt(0)
	s_barrier
	buffer_gl0_inv
	v_cmpx_gt_u32_e32 8, v0
	s_cbranch_execz .LBB22_35
; %bb.28:
	v_lshlrev_b32_e32 v1, 3, v11
	v_and_b32_e32 v5, 7, v11
	s_add_i32 s0, s0, 31
	s_mov_b32 s2, exec_lo
	s_lshr_b32 s0, s0, 5
	ds_load_b64 v[1:2], v1 offset:64
	v_cmp_ne_u32_e32 vcc_lo, 7, v5
	v_add_nc_u32_e32 v6, 1, v5
	v_add_co_ci_u32_e32 v3, vcc_lo, 0, v11, vcc_lo
	s_delay_alu instid0(VALU_DEP_1)
	v_lshlrev_b32_e32 v4, 2, v3
	s_waitcnt lgkmcnt(0)
	ds_bpermute_b32 v3, v4, v1
	ds_bpermute_b32 v4, v4, v2
	v_cmpx_gt_u32_e64 s0, v6
	s_cbranch_execz .LBB22_30
; %bb.29:
	s_waitcnt lgkmcnt(0)
	v_add_f64 v[1:2], v[1:2], v[3:4]
.LBB22_30:
	s_or_b32 exec_lo, exec_lo, s2
	v_cmp_gt_u32_e32 vcc_lo, 6, v5
	v_add_nc_u32_e32 v6, 2, v5
	s_mov_b32 s2, exec_lo
	s_waitcnt lgkmcnt(1)
	v_cndmask_b32_e64 v3, 0, 1, vcc_lo
	s_delay_alu instid0(VALU_DEP_1) | instskip(SKIP_1) | instid1(VALU_DEP_1)
	v_lshlrev_b32_e32 v3, 1, v3
	s_waitcnt lgkmcnt(0)
	v_add_lshl_u32 v4, v3, v11, 2
	ds_bpermute_b32 v3, v4, v1
	ds_bpermute_b32 v4, v4, v2
	v_cmpx_gt_u32_e64 s0, v6
	s_cbranch_execz .LBB22_32
; %bb.31:
	s_waitcnt lgkmcnt(0)
	v_add_f64 v[1:2], v[1:2], v[3:4]
.LBB22_32:
	s_or_b32 exec_lo, exec_lo, s2
	v_cmp_gt_u32_e32 vcc_lo, 4, v5
	v_add_nc_u32_e32 v5, 4, v5
	s_waitcnt lgkmcnt(1)
	v_cndmask_b32_e64 v3, 0, 1, vcc_lo
	s_delay_alu instid0(VALU_DEP_2) | instskip(NEXT) | instid1(VALU_DEP_2)
	v_cmp_gt_u32_e32 vcc_lo, s0, v5
	v_lshlrev_b32_e32 v3, 2, v3
	s_waitcnt lgkmcnt(0)
	s_delay_alu instid0(VALU_DEP_1)
	v_add_lshl_u32 v4, v3, v11, 2
	ds_bpermute_b32 v3, v4, v1
	ds_bpermute_b32 v4, v4, v2
	s_and_saveexec_b32 s0, vcc_lo
	s_cbranch_execz .LBB22_34
; %bb.33:
	s_waitcnt lgkmcnt(0)
	v_add_f64 v[1:2], v[1:2], v[3:4]
.LBB22_34:
	s_or_b32 exec_lo, exec_lo, s0
.LBB22_35:
	s_delay_alu instid0(SALU_CYCLE_1)
	s_or_b32 exec_lo, exec_lo, s1
.LBB22_36:
	s_delay_alu instid0(SALU_CYCLE_1)
	s_mov_b32 s0, exec_lo
	v_cmpx_eq_u32_e32 0, v0
	s_cbranch_execz .LBB22_38
; %bb.37:
	s_delay_alu instid0(VALU_DEP_2)
	v_add_f64 v[0:1], v[1:2], s[8:9]
	s_lshl_b64 s[0:1], s[10:11], 3
	v_mov_b32_e32 v2, 0
	s_add_u32 s0, s6, s0
	s_addc_u32 s1, s7, s1
	s_cmp_eq_u64 s[4:5], 0
	s_cselect_b32 s2, -1, 0
	s_delay_alu instid0(VALU_DEP_2) | instid1(SALU_CYCLE_1)
	v_cndmask_b32_e64 v1, v1, s9, s2
	s_delay_alu instid0(VALU_DEP_3)
	v_cndmask_b32_e64 v0, v0, s8, s2
	global_store_b64 v2, v[0:1], s[0:1]
.LBB22_38:
	s_nop 0
	s_sendmsg sendmsg(MSG_DEALLOC_VGPRS)
	s_endpgm
	.section	.rodata,"a",@progbits
	.p2align	6, 0x0
	.amdhsa_kernel _ZN7rocprim6detail19block_reduce_kernelILb1ELb0ELj1ENS0_21wrapped_reduce_configINS_14default_configEdEEdN6thrust11hip_rocprim26transform_input_iterator_tIdNS5_6detail15normal_iteratorINS5_10device_ptrIdEEEEZ4mainEUldE_EEPddNS5_4plusIdEEEEvT4_mT5_T6_T7_
		.amdhsa_group_segment_fixed_size 128
		.amdhsa_private_segment_fixed_size 0
		.amdhsa_kernarg_size 44
		.amdhsa_user_sgpr_count 15
		.amdhsa_user_sgpr_dispatch_ptr 0
		.amdhsa_user_sgpr_queue_ptr 0
		.amdhsa_user_sgpr_kernarg_segment_ptr 1
		.amdhsa_user_sgpr_dispatch_id 0
		.amdhsa_user_sgpr_private_segment_size 0
		.amdhsa_wavefront_size32 1
		.amdhsa_uses_dynamic_stack 0
		.amdhsa_enable_private_segment 0
		.amdhsa_system_sgpr_workgroup_id_x 1
		.amdhsa_system_sgpr_workgroup_id_y 0
		.amdhsa_system_sgpr_workgroup_id_z 0
		.amdhsa_system_sgpr_workgroup_info 0
		.amdhsa_system_vgpr_workitem_id 0
		.amdhsa_next_free_vgpr 13
		.amdhsa_next_free_sgpr 16
		.amdhsa_reserve_vcc 1
		.amdhsa_float_round_mode_32 0
		.amdhsa_float_round_mode_16_64 0
		.amdhsa_float_denorm_mode_32 3
		.amdhsa_float_denorm_mode_16_64 3
		.amdhsa_dx10_clamp 1
		.amdhsa_ieee_mode 1
		.amdhsa_fp16_overflow 0
		.amdhsa_workgroup_processor_mode 1
		.amdhsa_memory_ordered 1
		.amdhsa_forward_progress 0
		.amdhsa_shared_vgpr_count 0
		.amdhsa_exception_fp_ieee_invalid_op 0
		.amdhsa_exception_fp_denorm_src 0
		.amdhsa_exception_fp_ieee_div_zero 0
		.amdhsa_exception_fp_ieee_overflow 0
		.amdhsa_exception_fp_ieee_underflow 0
		.amdhsa_exception_fp_ieee_inexact 0
		.amdhsa_exception_int_div_zero 0
	.end_amdhsa_kernel
	.section	.text._ZN7rocprim6detail19block_reduce_kernelILb1ELb0ELj1ENS0_21wrapped_reduce_configINS_14default_configEdEEdN6thrust11hip_rocprim26transform_input_iterator_tIdNS5_6detail15normal_iteratorINS5_10device_ptrIdEEEEZ4mainEUldE_EEPddNS5_4plusIdEEEEvT4_mT5_T6_T7_,"axG",@progbits,_ZN7rocprim6detail19block_reduce_kernelILb1ELb0ELj1ENS0_21wrapped_reduce_configINS_14default_configEdEEdN6thrust11hip_rocprim26transform_input_iterator_tIdNS5_6detail15normal_iteratorINS5_10device_ptrIdEEEEZ4mainEUldE_EEPddNS5_4plusIdEEEEvT4_mT5_T6_T7_,comdat
.Lfunc_end22:
	.size	_ZN7rocprim6detail19block_reduce_kernelILb1ELb0ELj1ENS0_21wrapped_reduce_configINS_14default_configEdEEdN6thrust11hip_rocprim26transform_input_iterator_tIdNS5_6detail15normal_iteratorINS5_10device_ptrIdEEEEZ4mainEUldE_EEPddNS5_4plusIdEEEEvT4_mT5_T6_T7_, .Lfunc_end22-_ZN7rocprim6detail19block_reduce_kernelILb1ELb0ELj1ENS0_21wrapped_reduce_configINS_14default_configEdEEdN6thrust11hip_rocprim26transform_input_iterator_tIdNS5_6detail15normal_iteratorINS5_10device_ptrIdEEEEZ4mainEUldE_EEPddNS5_4plusIdEEEEvT4_mT5_T6_T7_
                                        ; -- End function
	.section	.AMDGPU.csdata,"",@progbits
; Kernel info:
; codeLenInByte = 1848
; NumSgprs: 18
; NumVgprs: 13
; ScratchSize: 0
; MemoryBound: 0
; FloatMode: 240
; IeeeMode: 1
; LDSByteSize: 128 bytes/workgroup (compile time only)
; SGPRBlocks: 2
; VGPRBlocks: 1
; NumSGPRsForWavesPerEU: 18
; NumVGPRsForWavesPerEU: 13
; Occupancy: 16
; WaveLimiterHint : 1
; COMPUTE_PGM_RSRC2:SCRATCH_EN: 0
; COMPUTE_PGM_RSRC2:USER_SGPR: 15
; COMPUTE_PGM_RSRC2:TRAP_HANDLER: 0
; COMPUTE_PGM_RSRC2:TGID_X_EN: 1
; COMPUTE_PGM_RSRC2:TGID_Y_EN: 0
; COMPUTE_PGM_RSRC2:TGID_Z_EN: 0
; COMPUTE_PGM_RSRC2:TIDIG_COMP_CNT: 0
	.text
	.p2alignl 7, 3214868480
	.fill 96, 4, 3214868480
	.type	__hip_cuid_4b3c87b601e60a2c,@object ; @__hip_cuid_4b3c87b601e60a2c
	.section	.bss,"aw",@nobits
	.globl	__hip_cuid_4b3c87b601e60a2c
__hip_cuid_4b3c87b601e60a2c:
	.byte	0                               ; 0x0
	.size	__hip_cuid_4b3c87b601e60a2c, 1

	.ident	"AMD clang version 19.0.0git (https://github.com/RadeonOpenCompute/llvm-project roc-6.4.0 25133 c7fe45cf4b819c5991fe208aaa96edf142730f1d)"
	.section	".note.GNU-stack","",@progbits
	.addrsig
	.addrsig_sym __hip_cuid_4b3c87b601e60a2c
	.amdgpu_metadata
---
amdhsa.kernels:
  - .args:
      - .offset:         0
        .size:           16
        .value_kind:     by_value
      - .offset:         16
        .size:           8
        .value_kind:     by_value
      - .offset:         24
        .size:           8
        .value_kind:     by_value
    .group_segment_fixed_size: 0
    .kernarg_segment_align: 8
    .kernarg_segment_size: 32
    .language:       OpenCL C
    .language_version:
      - 2
      - 0
    .max_flat_workgroup_size: 256
    .name:           _ZN6thrust11hip_rocprim14__parallel_for6kernelILj256ENS0_20__uninitialized_fill7functorINS_10device_ptrIdEEdEEmLj1EEEvT0_T1_S9_
    .private_segment_fixed_size: 0
    .sgpr_count:     18
    .sgpr_spill_count: 0
    .symbol:         _ZN6thrust11hip_rocprim14__parallel_for6kernelILj256ENS0_20__uninitialized_fill7functorINS_10device_ptrIdEEdEEmLj1EEEvT0_T1_S9_.kd
    .uniform_work_group_size: 1
    .uses_dynamic_stack: false
    .vgpr_count:     4
    .vgpr_spill_count: 0
    .wavefront_size: 32
    .workgroup_processor_mode: 1
  - .args:
      - .offset:         0
        .size:           32
        .value_kind:     by_value
      - .offset:         32
        .size:           8
        .value_kind:     by_value
      - .offset:         40
        .size:           8
        .value_kind:     by_value
    .group_segment_fixed_size: 0
    .kernarg_segment_align: 8
    .kernarg_segment_size: 48
    .language:       OpenCL C
    .language_version:
      - 2
      - 0
    .max_flat_workgroup_size: 256
    .name:           _ZN6thrust11hip_rocprim14__parallel_for6kernelILj256ENS0_11__transform17unary_transform_fINS_17counting_iteratorIlNS_11use_defaultES6_S6_EENS_6detail15normal_iteratorINS_10device_ptrIdEEEENS3_14no_stencil_tagEZNS0_6fill_nINS0_5par_tESC_ldEET0_RNS0_16execution_policyIT_EESG_T1_RKT2_EUllE_NS3_21always_true_predicateEEElLj1EEEvSG_SL_SL_
    .private_segment_fixed_size: 0
    .sgpr_count:     18
    .sgpr_spill_count: 0
    .symbol:         _ZN6thrust11hip_rocprim14__parallel_for6kernelILj256ENS0_11__transform17unary_transform_fINS_17counting_iteratorIlNS_11use_defaultES6_S6_EENS_6detail15normal_iteratorINS_10device_ptrIdEEEENS3_14no_stencil_tagEZNS0_6fill_nINS0_5par_tESC_ldEET0_RNS0_16execution_policyIT_EESG_T1_RKT2_EUllE_NS3_21always_true_predicateEEElLj1EEEvSG_SL_SL_.kd
    .uniform_work_group_size: 1
    .uses_dynamic_stack: false
    .vgpr_count:     4
    .vgpr_spill_count: 0
    .wavefront_size: 32
    .workgroup_processor_mode: 1
  - .args:
      - .offset:         0
        .size:           32
        .value_kind:     by_value
      - .offset:         32
        .size:           8
        .value_kind:     by_value
      - .offset:         40
        .size:           8
        .value_kind:     by_value
    .group_segment_fixed_size: 0
    .kernarg_segment_align: 8
    .kernarg_segment_size: 48
    .language:       OpenCL C
    .language_version:
      - 2
      - 0
    .max_flat_workgroup_size: 256
    .name:           _ZN6thrust11hip_rocprim14__parallel_for6kernelILj256ENS0_10for_each_fINS_12zip_iteratorINS_5tupleINS_6detail15normal_iteratorINS_10device_ptrIdEEEESA_SA_NS_9null_typeESB_SB_SB_SB_SB_SB_EEEENS6_16wrapped_functionIZ4mainEUlNS5_IRdddSB_SB_SB_SB_SB_SB_SB_EEE_vEEEElLj1EEEvT0_T1_SL_
    .private_segment_fixed_size: 0
    .sgpr_count:     18
    .sgpr_spill_count: 0
    .symbol:         _ZN6thrust11hip_rocprim14__parallel_for6kernelILj256ENS0_10for_each_fINS_12zip_iteratorINS_5tupleINS_6detail15normal_iteratorINS_10device_ptrIdEEEESA_SA_NS_9null_typeESB_SB_SB_SB_SB_SB_EEEENS6_16wrapped_functionIZ4mainEUlNS5_IRdddSB_SB_SB_SB_SB_SB_SB_EEE_vEEEElLj1EEEvT0_T1_SL_.kd
    .uniform_work_group_size: 1
    .uses_dynamic_stack: false
    .vgpr_count:     8
    .vgpr_spill_count: 0
    .wavefront_size: 32
    .workgroup_processor_mode: 1
  - .args:
      - .address_space:  global
        .offset:         0
        .size:           8
        .value_kind:     global_buffer
      - .offset:         8
        .size:           8
        .value_kind:     by_value
      - .address_space:  global
        .offset:         16
        .size:           8
        .value_kind:     global_buffer
      - .offset:         24
        .size:           8
        .value_kind:     by_value
      - .offset:         32
        .size:           1
        .value_kind:     by_value
    .group_segment_fixed_size: 128
    .kernarg_segment_align: 8
    .kernarg_segment_size: 36
    .language:       OpenCL C
    .language_version:
      - 2
      - 0
    .max_flat_workgroup_size: 256
    .name:           _ZN7rocprim6detail19block_reduce_kernelILb0ELb1ELj1ENS0_21wrapped_reduce_configINS_14default_configEdEEdPdS5_dN6thrust4plusIdEEEEvT4_mT5_T6_T7_
    .private_segment_fixed_size: 0
    .sgpr_count:     18
    .sgpr_spill_count: 0
    .symbol:         _ZN7rocprim6detail19block_reduce_kernelILb0ELb1ELj1ENS0_21wrapped_reduce_configINS_14default_configEdEEdPdS5_dN6thrust4plusIdEEEEvT4_mT5_T6_T7_.kd
    .uniform_work_group_size: 1
    .uses_dynamic_stack: false
    .vgpr_count:     13
    .vgpr_spill_count: 0
    .wavefront_size: 32
    .workgroup_processor_mode: 1
  - .args:
      - .address_space:  global
        .offset:         0
        .size:           8
        .value_kind:     global_buffer
      - .offset:         8
        .size:           8
        .value_kind:     by_value
      - .address_space:  global
        .offset:         16
        .size:           8
        .value_kind:     global_buffer
      - .offset:         24
        .size:           8
        .value_kind:     by_value
      - .offset:         32
        .size:           1
        .value_kind:     by_value
    .group_segment_fixed_size: 128
    .kernarg_segment_align: 8
    .kernarg_segment_size: 36
    .language:       OpenCL C
    .language_version:
      - 2
      - 0
    .max_flat_workgroup_size: 256
    .name:           _ZN7rocprim6detail19block_reduce_kernelILb1ELb1ELj2ENS0_21wrapped_reduce_configINS_14default_configEdEEdPdS5_dN6thrust4plusIdEEEEvT4_mT5_T6_T7_
    .private_segment_fixed_size: 0
    .sgpr_count:     20
    .sgpr_spill_count: 0
    .symbol:         _ZN7rocprim6detail19block_reduce_kernelILb1ELb1ELj2ENS0_21wrapped_reduce_configINS_14default_configEdEEdPdS5_dN6thrust4plusIdEEEEvT4_mT5_T6_T7_.kd
    .uniform_work_group_size: 1
    .uses_dynamic_stack: false
    .vgpr_count:     21
    .vgpr_spill_count: 0
    .wavefront_size: 32
    .workgroup_processor_mode: 1
  - .args:
      - .address_space:  global
        .offset:         0
        .size:           8
        .value_kind:     global_buffer
      - .offset:         8
        .size:           8
        .value_kind:     by_value
      - .address_space:  global
        .offset:         16
        .size:           8
        .value_kind:     global_buffer
      - .offset:         24
        .size:           8
        .value_kind:     by_value
      - .offset:         32
        .size:           1
        .value_kind:     by_value
    .group_segment_fixed_size: 128
    .kernarg_segment_align: 8
    .kernarg_segment_size: 36
    .language:       OpenCL C
    .language_version:
      - 2
      - 0
    .max_flat_workgroup_size: 256
    .name:           _ZN7rocprim6detail19block_reduce_kernelILb1ELb1ELj4ENS0_21wrapped_reduce_configINS_14default_configEdEEdPdS5_dN6thrust4plusIdEEEEvT4_mT5_T6_T7_
    .private_segment_fixed_size: 0
    .sgpr_count:     28
    .sgpr_spill_count: 0
    .symbol:         _ZN7rocprim6detail19block_reduce_kernelILb1ELb1ELj4ENS0_21wrapped_reduce_configINS_14default_configEdEEdPdS5_dN6thrust4plusIdEEEEvT4_mT5_T6_T7_.kd
    .uniform_work_group_size: 1
    .uses_dynamic_stack: false
    .vgpr_count:     37
    .vgpr_spill_count: 0
    .wavefront_size: 32
    .workgroup_processor_mode: 1
  - .args:
      - .address_space:  global
        .offset:         0
        .size:           8
        .value_kind:     global_buffer
      - .offset:         8
        .size:           8
        .value_kind:     by_value
      - .address_space:  global
        .offset:         16
        .size:           8
        .value_kind:     global_buffer
      - .offset:         24
        .size:           8
        .value_kind:     by_value
      - .offset:         32
        .size:           1
        .value_kind:     by_value
    .group_segment_fixed_size: 128
    .kernarg_segment_align: 8
    .kernarg_segment_size: 36
    .language:       OpenCL C
    .language_version:
      - 2
      - 0
    .max_flat_workgroup_size: 256
    .name:           _ZN7rocprim6detail19block_reduce_kernelILb1ELb1ELj8ENS0_21wrapped_reduce_configINS_14default_configEdEEdPdS5_dN6thrust4plusIdEEEEvT4_mT5_T6_T7_
    .private_segment_fixed_size: 0
    .sgpr_count:     46
    .sgpr_spill_count: 0
    .symbol:         _ZN7rocprim6detail19block_reduce_kernelILb1ELb1ELj8ENS0_21wrapped_reduce_configINS_14default_configEdEEdPdS5_dN6thrust4plusIdEEEEvT4_mT5_T6_T7_.kd
    .uniform_work_group_size: 1
    .uses_dynamic_stack: false
    .vgpr_count:     68
    .vgpr_spill_count: 0
    .wavefront_size: 32
    .workgroup_processor_mode: 1
  - .args:
      - .address_space:  global
        .offset:         0
        .size:           8
        .value_kind:     global_buffer
      - .offset:         8
        .size:           8
        .value_kind:     by_value
      - .address_space:  global
        .offset:         16
        .size:           8
        .value_kind:     global_buffer
      - .offset:         24
        .size:           8
        .value_kind:     by_value
      - .offset:         32
        .size:           1
        .value_kind:     by_value
    .group_segment_fixed_size: 128
    .kernarg_segment_align: 8
    .kernarg_segment_size: 36
    .language:       OpenCL C
    .language_version:
      - 2
      - 0
    .max_flat_workgroup_size: 256
    .name:           _ZN7rocprim6detail19block_reduce_kernelILb1ELb1ELj16ENS0_21wrapped_reduce_configINS_14default_configEdEEdPdS5_dN6thrust4plusIdEEEEvT4_mT5_T6_T7_
    .private_segment_fixed_size: 0
    .sgpr_count:     76
    .sgpr_spill_count: 0
    .symbol:         _ZN7rocprim6detail19block_reduce_kernelILb1ELb1ELj16ENS0_21wrapped_reduce_configINS_14default_configEdEEdPdS5_dN6thrust4plusIdEEEEvT4_mT5_T6_T7_.kd
    .uniform_work_group_size: 1
    .uses_dynamic_stack: false
    .vgpr_count:     132
    .vgpr_spill_count: 0
    .wavefront_size: 32
    .workgroup_processor_mode: 1
  - .args:
      - .address_space:  global
        .offset:         0
        .size:           8
        .value_kind:     global_buffer
      - .offset:         8
        .size:           8
        .value_kind:     by_value
      - .address_space:  global
        .offset:         16
        .size:           8
        .value_kind:     global_buffer
      - .offset:         24
        .size:           8
        .value_kind:     by_value
      - .offset:         32
        .size:           1
        .value_kind:     by_value
    .group_segment_fixed_size: 128
    .kernarg_segment_align: 8
    .kernarg_segment_size: 36
    .language:       OpenCL C
    .language_version:
      - 2
      - 0
    .max_flat_workgroup_size: 256
    .name:           _ZN7rocprim6detail19block_reduce_kernelILb1ELb0ELj16ENS0_21wrapped_reduce_configINS_14default_configEdEEdPdS5_dN6thrust4plusIdEEEEvT4_mT5_T6_T7_
    .private_segment_fixed_size: 0
    .sgpr_count:     18
    .sgpr_spill_count: 0
    .symbol:         _ZN7rocprim6detail19block_reduce_kernelILb1ELb0ELj16ENS0_21wrapped_reduce_configINS_14default_configEdEEdPdS5_dN6thrust4plusIdEEEEvT4_mT5_T6_T7_.kd
    .uniform_work_group_size: 1
    .uses_dynamic_stack: false
    .vgpr_count:     8
    .vgpr_spill_count: 0
    .wavefront_size: 32
    .workgroup_processor_mode: 1
  - .args:
      - .address_space:  global
        .offset:         0
        .size:           8
        .value_kind:     global_buffer
      - .offset:         8
        .size:           8
        .value_kind:     by_value
      - .address_space:  global
        .offset:         16
        .size:           8
        .value_kind:     global_buffer
      - .offset:         24
        .size:           8
        .value_kind:     by_value
      - .offset:         32
        .size:           1
        .value_kind:     by_value
    .group_segment_fixed_size: 128
    .kernarg_segment_align: 8
    .kernarg_segment_size: 36
    .language:       OpenCL C
    .language_version:
      - 2
      - 0
    .max_flat_workgroup_size: 256
    .name:           _ZN7rocprim6detail19block_reduce_kernelILb1ELb0ELj8ENS0_21wrapped_reduce_configINS_14default_configEdEEdPdS5_dN6thrust4plusIdEEEEvT4_mT5_T6_T7_
    .private_segment_fixed_size: 0
    .sgpr_count:     18
    .sgpr_spill_count: 0
    .symbol:         _ZN7rocprim6detail19block_reduce_kernelILb1ELb0ELj8ENS0_21wrapped_reduce_configINS_14default_configEdEEdPdS5_dN6thrust4plusIdEEEEvT4_mT5_T6_T7_.kd
    .uniform_work_group_size: 1
    .uses_dynamic_stack: false
    .vgpr_count:     8
    .vgpr_spill_count: 0
    .wavefront_size: 32
    .workgroup_processor_mode: 1
  - .args:
      - .address_space:  global
        .offset:         0
        .size:           8
        .value_kind:     global_buffer
      - .offset:         8
        .size:           8
        .value_kind:     by_value
      - .address_space:  global
        .offset:         16
        .size:           8
        .value_kind:     global_buffer
      - .offset:         24
        .size:           8
        .value_kind:     by_value
      - .offset:         32
        .size:           1
        .value_kind:     by_value
    .group_segment_fixed_size: 128
    .kernarg_segment_align: 8
    .kernarg_segment_size: 36
    .language:       OpenCL C
    .language_version:
      - 2
      - 0
    .max_flat_workgroup_size: 256
    .name:           _ZN7rocprim6detail19block_reduce_kernelILb1ELb0ELj4ENS0_21wrapped_reduce_configINS_14default_configEdEEdPdS5_dN6thrust4plusIdEEEEvT4_mT5_T6_T7_
    .private_segment_fixed_size: 0
    .sgpr_count:     18
    .sgpr_spill_count: 0
    .symbol:         _ZN7rocprim6detail19block_reduce_kernelILb1ELb0ELj4ENS0_21wrapped_reduce_configINS_14default_configEdEEdPdS5_dN6thrust4plusIdEEEEvT4_mT5_T6_T7_.kd
    .uniform_work_group_size: 1
    .uses_dynamic_stack: false
    .vgpr_count:     8
    .vgpr_spill_count: 0
    .wavefront_size: 32
    .workgroup_processor_mode: 1
  - .args:
      - .address_space:  global
        .offset:         0
        .size:           8
        .value_kind:     global_buffer
      - .offset:         8
        .size:           8
        .value_kind:     by_value
      - .address_space:  global
        .offset:         16
        .size:           8
        .value_kind:     global_buffer
      - .offset:         24
        .size:           8
        .value_kind:     by_value
      - .offset:         32
        .size:           1
        .value_kind:     by_value
    .group_segment_fixed_size: 128
    .kernarg_segment_align: 8
    .kernarg_segment_size: 36
    .language:       OpenCL C
    .language_version:
      - 2
      - 0
    .max_flat_workgroup_size: 256
    .name:           _ZN7rocprim6detail19block_reduce_kernelILb1ELb0ELj2ENS0_21wrapped_reduce_configINS_14default_configEdEEdPdS5_dN6thrust4plusIdEEEEvT4_mT5_T6_T7_
    .private_segment_fixed_size: 0
    .sgpr_count:     18
    .sgpr_spill_count: 0
    .symbol:         _ZN7rocprim6detail19block_reduce_kernelILb1ELb0ELj2ENS0_21wrapped_reduce_configINS_14default_configEdEEdPdS5_dN6thrust4plusIdEEEEvT4_mT5_T6_T7_.kd
    .uniform_work_group_size: 1
    .uses_dynamic_stack: false
    .vgpr_count:     9
    .vgpr_spill_count: 0
    .wavefront_size: 32
    .workgroup_processor_mode: 1
  - .args:
      - .address_space:  global
        .offset:         0
        .size:           8
        .value_kind:     global_buffer
      - .offset:         8
        .size:           8
        .value_kind:     by_value
      - .address_space:  global
        .offset:         16
        .size:           8
        .value_kind:     global_buffer
      - .offset:         24
        .size:           8
        .value_kind:     by_value
      - .offset:         32
        .size:           1
        .value_kind:     by_value
    .group_segment_fixed_size: 128
    .kernarg_segment_align: 8
    .kernarg_segment_size: 36
    .language:       OpenCL C
    .language_version:
      - 2
      - 0
    .max_flat_workgroup_size: 256
    .name:           _ZN7rocprim6detail19block_reduce_kernelILb1ELb0ELj1ENS0_21wrapped_reduce_configINS_14default_configEdEEdPdS5_dN6thrust4plusIdEEEEvT4_mT5_T6_T7_
    .private_segment_fixed_size: 0
    .sgpr_count:     18
    .sgpr_spill_count: 0
    .symbol:         _ZN7rocprim6detail19block_reduce_kernelILb1ELb0ELj1ENS0_21wrapped_reduce_configINS_14default_configEdEEdPdS5_dN6thrust4plusIdEEEEvT4_mT5_T6_T7_.kd
    .uniform_work_group_size: 1
    .uses_dynamic_stack: false
    .vgpr_count:     13
    .vgpr_spill_count: 0
    .wavefront_size: 32
    .workgroup_processor_mode: 1
  - .args:
      - .offset:         0
        .size:           16
        .value_kind:     by_value
      - .offset:         16
        .size:           8
        .value_kind:     by_value
      - .address_space:  global
        .offset:         24
        .size:           8
        .value_kind:     global_buffer
      - .offset:         32
        .size:           8
        .value_kind:     by_value
      - .offset:         40
        .size:           1
        .value_kind:     by_value
    .group_segment_fixed_size: 128
    .kernarg_segment_align: 8
    .kernarg_segment_size: 44
    .language:       OpenCL C
    .language_version:
      - 2
      - 0
    .max_flat_workgroup_size: 256
    .name:           _ZN7rocprim6detail19block_reduce_kernelILb0ELb1ELj1ENS0_21wrapped_reduce_configINS_14default_configEdEEdN6thrust11hip_rocprim26transform_input_iterator_tIdNS5_6detail15normal_iteratorINS5_10device_ptrIdEEEEZ4mainEUldE_EEPddNS5_4plusIdEEEEvT4_mT5_T6_T7_
    .private_segment_fixed_size: 0
    .sgpr_count:     18
    .sgpr_spill_count: 0
    .symbol:         _ZN7rocprim6detail19block_reduce_kernelILb0ELb1ELj1ENS0_21wrapped_reduce_configINS_14default_configEdEEdN6thrust11hip_rocprim26transform_input_iterator_tIdNS5_6detail15normal_iteratorINS5_10device_ptrIdEEEEZ4mainEUldE_EEPddNS5_4plusIdEEEEvT4_mT5_T6_T7_.kd
    .uniform_work_group_size: 1
    .uses_dynamic_stack: false
    .vgpr_count:     13
    .vgpr_spill_count: 0
    .wavefront_size: 32
    .workgroup_processor_mode: 1
  - .args:
      - .offset:         0
        .size:           16
        .value_kind:     by_value
      - .offset:         16
        .size:           8
        .value_kind:     by_value
      - .address_space:  global
        .offset:         24
        .size:           8
        .value_kind:     global_buffer
      - .offset:         32
        .size:           8
        .value_kind:     by_value
      - .offset:         40
        .size:           1
        .value_kind:     by_value
    .group_segment_fixed_size: 128
    .kernarg_segment_align: 8
    .kernarg_segment_size: 44
    .language:       OpenCL C
    .language_version:
      - 2
      - 0
    .max_flat_workgroup_size: 256
    .name:           _ZN7rocprim6detail19block_reduce_kernelILb1ELb1ELj2ENS0_21wrapped_reduce_configINS_14default_configEdEEdN6thrust11hip_rocprim26transform_input_iterator_tIdNS5_6detail15normal_iteratorINS5_10device_ptrIdEEEEZ4mainEUldE_EEPddNS5_4plusIdEEEEvT4_mT5_T6_T7_
    .private_segment_fixed_size: 0
    .sgpr_count:     19
    .sgpr_spill_count: 0
    .symbol:         _ZN7rocprim6detail19block_reduce_kernelILb1ELb1ELj2ENS0_21wrapped_reduce_configINS_14default_configEdEEdN6thrust11hip_rocprim26transform_input_iterator_tIdNS5_6detail15normal_iteratorINS5_10device_ptrIdEEEEZ4mainEUldE_EEPddNS5_4plusIdEEEEvT4_mT5_T6_T7_.kd
    .uniform_work_group_size: 1
    .uses_dynamic_stack: false
    .vgpr_count:     21
    .vgpr_spill_count: 0
    .wavefront_size: 32
    .workgroup_processor_mode: 1
  - .args:
      - .offset:         0
        .size:           16
        .value_kind:     by_value
      - .offset:         16
        .size:           8
        .value_kind:     by_value
      - .address_space:  global
        .offset:         24
        .size:           8
        .value_kind:     global_buffer
      - .offset:         32
        .size:           8
        .value_kind:     by_value
      - .offset:         40
        .size:           1
        .value_kind:     by_value
    .group_segment_fixed_size: 128
    .kernarg_segment_align: 8
    .kernarg_segment_size: 44
    .language:       OpenCL C
    .language_version:
      - 2
      - 0
    .max_flat_workgroup_size: 256
    .name:           _ZN7rocprim6detail19block_reduce_kernelILb1ELb1ELj4ENS0_21wrapped_reduce_configINS_14default_configEdEEdN6thrust11hip_rocprim26transform_input_iterator_tIdNS5_6detail15normal_iteratorINS5_10device_ptrIdEEEEZ4mainEUldE_EEPddNS5_4plusIdEEEEvT4_mT5_T6_T7_
    .private_segment_fixed_size: 0
    .sgpr_count:     27
    .sgpr_spill_count: 0
    .symbol:         _ZN7rocprim6detail19block_reduce_kernelILb1ELb1ELj4ENS0_21wrapped_reduce_configINS_14default_configEdEEdN6thrust11hip_rocprim26transform_input_iterator_tIdNS5_6detail15normal_iteratorINS5_10device_ptrIdEEEEZ4mainEUldE_EEPddNS5_4plusIdEEEEvT4_mT5_T6_T7_.kd
    .uniform_work_group_size: 1
    .uses_dynamic_stack: false
    .vgpr_count:     37
    .vgpr_spill_count: 0
    .wavefront_size: 32
    .workgroup_processor_mode: 1
  - .args:
      - .offset:         0
        .size:           16
        .value_kind:     by_value
      - .offset:         16
        .size:           8
        .value_kind:     by_value
      - .address_space:  global
        .offset:         24
        .size:           8
        .value_kind:     global_buffer
      - .offset:         32
        .size:           8
        .value_kind:     by_value
      - .offset:         40
        .size:           1
        .value_kind:     by_value
    .group_segment_fixed_size: 128
    .kernarg_segment_align: 8
    .kernarg_segment_size: 44
    .language:       OpenCL C
    .language_version:
      - 2
      - 0
    .max_flat_workgroup_size: 256
    .name:           _ZN7rocprim6detail19block_reduce_kernelILb1ELb1ELj8ENS0_21wrapped_reduce_configINS_14default_configEdEEdN6thrust11hip_rocprim26transform_input_iterator_tIdNS5_6detail15normal_iteratorINS5_10device_ptrIdEEEEZ4mainEUldE_EEPddNS5_4plusIdEEEEvT4_mT5_T6_T7_
    .private_segment_fixed_size: 0
    .sgpr_count:     44
    .sgpr_spill_count: 0
    .symbol:         _ZN7rocprim6detail19block_reduce_kernelILb1ELb1ELj8ENS0_21wrapped_reduce_configINS_14default_configEdEEdN6thrust11hip_rocprim26transform_input_iterator_tIdNS5_6detail15normal_iteratorINS5_10device_ptrIdEEEEZ4mainEUldE_EEPddNS5_4plusIdEEEEvT4_mT5_T6_T7_.kd
    .uniform_work_group_size: 1
    .uses_dynamic_stack: false
    .vgpr_count:     68
    .vgpr_spill_count: 0
    .wavefront_size: 32
    .workgroup_processor_mode: 1
  - .args:
      - .offset:         0
        .size:           16
        .value_kind:     by_value
      - .offset:         16
        .size:           8
        .value_kind:     by_value
      - .address_space:  global
        .offset:         24
        .size:           8
        .value_kind:     global_buffer
      - .offset:         32
        .size:           8
        .value_kind:     by_value
      - .offset:         40
        .size:           1
        .value_kind:     by_value
    .group_segment_fixed_size: 128
    .kernarg_segment_align: 8
    .kernarg_segment_size: 44
    .language:       OpenCL C
    .language_version:
      - 2
      - 0
    .max_flat_workgroup_size: 256
    .name:           _ZN7rocprim6detail19block_reduce_kernelILb1ELb1ELj16ENS0_21wrapped_reduce_configINS_14default_configEdEEdN6thrust11hip_rocprim26transform_input_iterator_tIdNS5_6detail15normal_iteratorINS5_10device_ptrIdEEEEZ4mainEUldE_EEPddNS5_4plusIdEEEEvT4_mT5_T6_T7_
    .private_segment_fixed_size: 0
    .sgpr_count:     76
    .sgpr_spill_count: 0
    .symbol:         _ZN7rocprim6detail19block_reduce_kernelILb1ELb1ELj16ENS0_21wrapped_reduce_configINS_14default_configEdEEdN6thrust11hip_rocprim26transform_input_iterator_tIdNS5_6detail15normal_iteratorINS5_10device_ptrIdEEEEZ4mainEUldE_EEPddNS5_4plusIdEEEEvT4_mT5_T6_T7_.kd
    .uniform_work_group_size: 1
    .uses_dynamic_stack: false
    .vgpr_count:     132
    .vgpr_spill_count: 0
    .wavefront_size: 32
    .workgroup_processor_mode: 1
  - .args:
      - .offset:         0
        .size:           16
        .value_kind:     by_value
      - .offset:         16
        .size:           8
        .value_kind:     by_value
      - .address_space:  global
        .offset:         24
        .size:           8
        .value_kind:     global_buffer
      - .offset:         32
        .size:           8
        .value_kind:     by_value
      - .offset:         40
        .size:           1
        .value_kind:     by_value
    .group_segment_fixed_size: 128
    .kernarg_segment_align: 8
    .kernarg_segment_size: 44
    .language:       OpenCL C
    .language_version:
      - 2
      - 0
    .max_flat_workgroup_size: 256
    .name:           _ZN7rocprim6detail19block_reduce_kernelILb1ELb0ELj16ENS0_21wrapped_reduce_configINS_14default_configEdEEdN6thrust11hip_rocprim26transform_input_iterator_tIdNS5_6detail15normal_iteratorINS5_10device_ptrIdEEEEZ4mainEUldE_EEPddNS5_4plusIdEEEEvT4_mT5_T6_T7_
    .private_segment_fixed_size: 0
    .sgpr_count:     18
    .sgpr_spill_count: 0
    .symbol:         _ZN7rocprim6detail19block_reduce_kernelILb1ELb0ELj16ENS0_21wrapped_reduce_configINS_14default_configEdEEdN6thrust11hip_rocprim26transform_input_iterator_tIdNS5_6detail15normal_iteratorINS5_10device_ptrIdEEEEZ4mainEUldE_EEPddNS5_4plusIdEEEEvT4_mT5_T6_T7_.kd
    .uniform_work_group_size: 1
    .uses_dynamic_stack: false
    .vgpr_count:     8
    .vgpr_spill_count: 0
    .wavefront_size: 32
    .workgroup_processor_mode: 1
  - .args:
      - .offset:         0
        .size:           16
        .value_kind:     by_value
      - .offset:         16
        .size:           8
        .value_kind:     by_value
      - .address_space:  global
        .offset:         24
        .size:           8
        .value_kind:     global_buffer
      - .offset:         32
        .size:           8
        .value_kind:     by_value
      - .offset:         40
        .size:           1
        .value_kind:     by_value
    .group_segment_fixed_size: 128
    .kernarg_segment_align: 8
    .kernarg_segment_size: 44
    .language:       OpenCL C
    .language_version:
      - 2
      - 0
    .max_flat_workgroup_size: 256
    .name:           _ZN7rocprim6detail19block_reduce_kernelILb1ELb0ELj8ENS0_21wrapped_reduce_configINS_14default_configEdEEdN6thrust11hip_rocprim26transform_input_iterator_tIdNS5_6detail15normal_iteratorINS5_10device_ptrIdEEEEZ4mainEUldE_EEPddNS5_4plusIdEEEEvT4_mT5_T6_T7_
    .private_segment_fixed_size: 0
    .sgpr_count:     18
    .sgpr_spill_count: 0
    .symbol:         _ZN7rocprim6detail19block_reduce_kernelILb1ELb0ELj8ENS0_21wrapped_reduce_configINS_14default_configEdEEdN6thrust11hip_rocprim26transform_input_iterator_tIdNS5_6detail15normal_iteratorINS5_10device_ptrIdEEEEZ4mainEUldE_EEPddNS5_4plusIdEEEEvT4_mT5_T6_T7_.kd
    .uniform_work_group_size: 1
    .uses_dynamic_stack: false
    .vgpr_count:     8
    .vgpr_spill_count: 0
    .wavefront_size: 32
    .workgroup_processor_mode: 1
  - .args:
      - .offset:         0
        .size:           16
        .value_kind:     by_value
      - .offset:         16
        .size:           8
        .value_kind:     by_value
      - .address_space:  global
        .offset:         24
        .size:           8
        .value_kind:     global_buffer
      - .offset:         32
        .size:           8
        .value_kind:     by_value
      - .offset:         40
        .size:           1
        .value_kind:     by_value
    .group_segment_fixed_size: 128
    .kernarg_segment_align: 8
    .kernarg_segment_size: 44
    .language:       OpenCL C
    .language_version:
      - 2
      - 0
    .max_flat_workgroup_size: 256
    .name:           _ZN7rocprim6detail19block_reduce_kernelILb1ELb0ELj4ENS0_21wrapped_reduce_configINS_14default_configEdEEdN6thrust11hip_rocprim26transform_input_iterator_tIdNS5_6detail15normal_iteratorINS5_10device_ptrIdEEEEZ4mainEUldE_EEPddNS5_4plusIdEEEEvT4_mT5_T6_T7_
    .private_segment_fixed_size: 0
    .sgpr_count:     18
    .sgpr_spill_count: 0
    .symbol:         _ZN7rocprim6detail19block_reduce_kernelILb1ELb0ELj4ENS0_21wrapped_reduce_configINS_14default_configEdEEdN6thrust11hip_rocprim26transform_input_iterator_tIdNS5_6detail15normal_iteratorINS5_10device_ptrIdEEEEZ4mainEUldE_EEPddNS5_4plusIdEEEEvT4_mT5_T6_T7_.kd
    .uniform_work_group_size: 1
    .uses_dynamic_stack: false
    .vgpr_count:     8
    .vgpr_spill_count: 0
    .wavefront_size: 32
    .workgroup_processor_mode: 1
  - .args:
      - .offset:         0
        .size:           16
        .value_kind:     by_value
      - .offset:         16
        .size:           8
        .value_kind:     by_value
      - .address_space:  global
        .offset:         24
        .size:           8
        .value_kind:     global_buffer
      - .offset:         32
        .size:           8
        .value_kind:     by_value
      - .offset:         40
        .size:           1
        .value_kind:     by_value
    .group_segment_fixed_size: 128
    .kernarg_segment_align: 8
    .kernarg_segment_size: 44
    .language:       OpenCL C
    .language_version:
      - 2
      - 0
    .max_flat_workgroup_size: 256
    .name:           _ZN7rocprim6detail19block_reduce_kernelILb1ELb0ELj2ENS0_21wrapped_reduce_configINS_14default_configEdEEdN6thrust11hip_rocprim26transform_input_iterator_tIdNS5_6detail15normal_iteratorINS5_10device_ptrIdEEEEZ4mainEUldE_EEPddNS5_4plusIdEEEEvT4_mT5_T6_T7_
    .private_segment_fixed_size: 0
    .sgpr_count:     18
    .sgpr_spill_count: 0
    .symbol:         _ZN7rocprim6detail19block_reduce_kernelILb1ELb0ELj2ENS0_21wrapped_reduce_configINS_14default_configEdEEdN6thrust11hip_rocprim26transform_input_iterator_tIdNS5_6detail15normal_iteratorINS5_10device_ptrIdEEEEZ4mainEUldE_EEPddNS5_4plusIdEEEEvT4_mT5_T6_T7_.kd
    .uniform_work_group_size: 1
    .uses_dynamic_stack: false
    .vgpr_count:     9
    .vgpr_spill_count: 0
    .wavefront_size: 32
    .workgroup_processor_mode: 1
  - .args:
      - .offset:         0
        .size:           16
        .value_kind:     by_value
      - .offset:         16
        .size:           8
        .value_kind:     by_value
      - .address_space:  global
        .offset:         24
        .size:           8
        .value_kind:     global_buffer
      - .offset:         32
        .size:           8
        .value_kind:     by_value
      - .offset:         40
        .size:           1
        .value_kind:     by_value
    .group_segment_fixed_size: 128
    .kernarg_segment_align: 8
    .kernarg_segment_size: 44
    .language:       OpenCL C
    .language_version:
      - 2
      - 0
    .max_flat_workgroup_size: 256
    .name:           _ZN7rocprim6detail19block_reduce_kernelILb1ELb0ELj1ENS0_21wrapped_reduce_configINS_14default_configEdEEdN6thrust11hip_rocprim26transform_input_iterator_tIdNS5_6detail15normal_iteratorINS5_10device_ptrIdEEEEZ4mainEUldE_EEPddNS5_4plusIdEEEEvT4_mT5_T6_T7_
    .private_segment_fixed_size: 0
    .sgpr_count:     18
    .sgpr_spill_count: 0
    .symbol:         _ZN7rocprim6detail19block_reduce_kernelILb1ELb0ELj1ENS0_21wrapped_reduce_configINS_14default_configEdEEdN6thrust11hip_rocprim26transform_input_iterator_tIdNS5_6detail15normal_iteratorINS5_10device_ptrIdEEEEZ4mainEUldE_EEPddNS5_4plusIdEEEEvT4_mT5_T6_T7_.kd
    .uniform_work_group_size: 1
    .uses_dynamic_stack: false
    .vgpr_count:     13
    .vgpr_spill_count: 0
    .wavefront_size: 32
    .workgroup_processor_mode: 1
amdhsa.target:   amdgcn-amd-amdhsa--gfx1100
amdhsa.version:
  - 1
  - 2
...

	.end_amdgpu_metadata
